;; amdgpu-corpus repo=zjin-lcf/HeCBench kind=compiled arch=gfx906 opt=O3
	.amdgcn_target "amdgcn-amd-amdhsa--gfx906"
	.amdhsa_code_object_version 6
	.section	.text._Z30fast_hadamard_transform_kernelI37fast_hadamard_transform_kernel_traitsILi1ELi3EfEEv18HadamardParamsBase,"axG",@progbits,_Z30fast_hadamard_transform_kernelI37fast_hadamard_transform_kernel_traitsILi1ELi3EfEEv18HadamardParamsBase,comdat
	.protected	_Z30fast_hadamard_transform_kernelI37fast_hadamard_transform_kernel_traitsILi1ELi3EfEEv18HadamardParamsBase ; -- Begin function _Z30fast_hadamard_transform_kernelI37fast_hadamard_transform_kernel_traitsILi1ELi3EfEEv18HadamardParamsBase
	.globl	_Z30fast_hadamard_transform_kernelI37fast_hadamard_transform_kernel_traitsILi1ELi3EfEEv18HadamardParamsBase
	.p2align	8
	.type	_Z30fast_hadamard_transform_kernelI37fast_hadamard_transform_kernel_traitsILi1ELi3EfEEv18HadamardParamsBase,@function
_Z30fast_hadamard_transform_kernelI37fast_hadamard_transform_kernel_traitsILi1ELi3EfEEv18HadamardParamsBase: ; @_Z30fast_hadamard_transform_kernelI37fast_hadamard_transform_kernel_traitsILi1ELi3EfEEv18HadamardParamsBase
; %bb.0:
	s_load_dwordx4 s[8:11], s[4:5], 0x10
	s_load_dword s13, s[4:5], 0x4
	s_load_dwordx4 s[0:3], s[4:5], 0x28
	s_ashr_i32 s22, s6, 31
	s_mov_b32 s16, 0
	s_waitcnt lgkmcnt(0)
	s_mul_hi_u32 s7, s8, s6
	s_mul_i32 s12, s8, s22
	s_add_i32 s7, s7, s12
	s_mul_i32 s9, s9, s6
	s_add_i32 s9, s7, s9
	s_mul_i32 s8, s8, s6
	s_lshl_b64 s[8:9], s[8:9], 2
	s_load_dword s7, s[4:5], 0x44
	s_add_u32 s20, s0, s8
	s_addc_u32 s21, s1, s9
	s_cmp_lg_u32 s13, 0
	s_mov_b32 s12, 0
	s_cselect_b64 s[0:1], -1, 0
	s_cmp_eq_u32 s13, 0
	s_mov_b32 s17, 0
	s_mov_b32 s18, 0
	;; [unrolled: 1-line block ×3, first 2 shown]
	s_cbranch_scc1 .LBB0_2
; %bb.1:
	s_load_dwordx4 s[16:19], s[20:21], 0x0
.LBB0_2:
	s_waitcnt lgkmcnt(0)
	s_and_b32 s7, 0xffff, s7
	s_lshl_b32 s14, s7, 2
	s_cmp_lt_u32 s14, s13
	s_cselect_b64 s[8:9], -1, 0
	s_cmp_ge_u32 s14, s13
	s_mov_b32 s13, 0
	s_mov_b32 s14, 0
	;; [unrolled: 1-line block ×3, first 2 shown]
	s_cbranch_scc1 .LBB0_4
; %bb.3:
	s_lshl_b32 s12, s7, 4
	s_load_dwordx4 s[12:15], s[20:21], s12 offset:0x0
.LBB0_4:
	v_mov_b32_e32 v0, s17
	v_add_f32_e32 v2, s16, v0
	v_sub_f32_e32 v4, s16, v0
	s_waitcnt lgkmcnt(0)
	v_mov_b32_e32 v0, s13
	s_load_dword s4, s[4:5], 0x20
	v_add_f32_e32 v5, s12, v0
	v_sub_f32_e32 v7, s12, v0
	s_mul_i32 s5, s10, s22
	s_mul_hi_u32 s12, s10, s6
	s_add_i32 s5, s12, s5
	s_mul_i32 s11, s11, s6
	v_mov_b32_e32 v0, s19
	s_add_i32 s11, s5, s11
	s_mul_i32 s10, s10, s6
	v_add_f32_e32 v3, s18, v0
	v_sub_f32_e32 v6, s18, v0
	v_mov_b32_e32 v0, s15
	s_lshl_b64 s[10:11], s[10:11], 2
	v_add_f32_e32 v8, s14, v0
	v_sub_f32_e32 v9, s14, v0
	s_add_u32 s2, s2, s10
	v_add_f32_e32 v1, v2, v3
	v_sub_f32_e32 v0, v2, v3
	v_add_f32_e32 v3, v5, v8
	v_sub_f32_e32 v2, v5, v8
	;; [unrolled: 2-line block ×3, first 2 shown]
	v_add_f32_e32 v6, v7, v9
	s_addc_u32 s3, s3, s11
	s_andn2_b64 vcc, exec, s[0:1]
	v_sub_f32_e32 v7, v7, v9
	s_cbranch_vccz .LBB0_7
; %bb.5:
	s_andn2_b64 vcc, exec, s[8:9]
	s_cbranch_vccz .LBB0_8
.LBB0_6:
	s_endpgm
.LBB0_7:
	v_add_f32_e32 v8, v4, v7
	v_add_f32_e32 v9, v0, v2
	;; [unrolled: 1-line block ×4, first 2 shown]
	s_waitcnt lgkmcnt(0)
	v_mul_f32_e32 v11, s4, v8
	v_mul_f32_e32 v10, s4, v9
	;; [unrolled: 1-line block ×4, first 2 shown]
	v_mov_b32_e32 v12, 0
	global_store_dwordx4 v12, v[8:11], s[2:3]
	s_andn2_b64 vcc, exec, s[8:9]
	s_cbranch_vccnz .LBB0_6
.LBB0_8:
	v_sub_f32_e32 v1, v1, v3
	v_sub_f32_e32 v3, v5, v6
	v_sub_f32_e32 v2, v0, v2
	v_sub_f32_e32 v4, v4, v7
	s_lshl_b32 s0, s7, 4
	s_waitcnt lgkmcnt(0)
	v_mul_f32_e32 v0, s4, v1
	v_mul_f32_e32 v1, s4, v3
	;; [unrolled: 1-line block ×4, first 2 shown]
	v_mov_b32_e32 v4, s0
	global_store_dwordx4 v4, v[0:3], s[2:3]
	s_endpgm
	.section	.rodata,"a",@progbits
	.p2align	6, 0x0
	.amdhsa_kernel _Z30fast_hadamard_transform_kernelI37fast_hadamard_transform_kernel_traitsILi1ELi3EfEEv18HadamardParamsBase
		.amdhsa_group_segment_fixed_size 0
		.amdhsa_private_segment_fixed_size 0
		.amdhsa_kernarg_size 312
		.amdhsa_user_sgpr_count 6
		.amdhsa_user_sgpr_private_segment_buffer 1
		.amdhsa_user_sgpr_dispatch_ptr 0
		.amdhsa_user_sgpr_queue_ptr 0
		.amdhsa_user_sgpr_kernarg_segment_ptr 1
		.amdhsa_user_sgpr_dispatch_id 0
		.amdhsa_user_sgpr_flat_scratch_init 0
		.amdhsa_user_sgpr_private_segment_size 0
		.amdhsa_uses_dynamic_stack 0
		.amdhsa_system_sgpr_private_segment_wavefront_offset 0
		.amdhsa_system_sgpr_workgroup_id_x 1
		.amdhsa_system_sgpr_workgroup_id_y 0
		.amdhsa_system_sgpr_workgroup_id_z 0
		.amdhsa_system_sgpr_workgroup_info 0
		.amdhsa_system_vgpr_workitem_id 0
		.amdhsa_next_free_vgpr 14
		.amdhsa_next_free_sgpr 23
		.amdhsa_reserve_vcc 1
		.amdhsa_reserve_flat_scratch 0
		.amdhsa_float_round_mode_32 0
		.amdhsa_float_round_mode_16_64 0
		.amdhsa_float_denorm_mode_32 3
		.amdhsa_float_denorm_mode_16_64 3
		.amdhsa_dx10_clamp 1
		.amdhsa_ieee_mode 1
		.amdhsa_fp16_overflow 0
		.amdhsa_exception_fp_ieee_invalid_op 0
		.amdhsa_exception_fp_denorm_src 0
		.amdhsa_exception_fp_ieee_div_zero 0
		.amdhsa_exception_fp_ieee_overflow 0
		.amdhsa_exception_fp_ieee_underflow 0
		.amdhsa_exception_fp_ieee_inexact 0
		.amdhsa_exception_int_div_zero 0
	.end_amdhsa_kernel
	.section	.text._Z30fast_hadamard_transform_kernelI37fast_hadamard_transform_kernel_traitsILi1ELi3EfEEv18HadamardParamsBase,"axG",@progbits,_Z30fast_hadamard_transform_kernelI37fast_hadamard_transform_kernel_traitsILi1ELi3EfEEv18HadamardParamsBase,comdat
.Lfunc_end0:
	.size	_Z30fast_hadamard_transform_kernelI37fast_hadamard_transform_kernel_traitsILi1ELi3EfEEv18HadamardParamsBase, .Lfunc_end0-_Z30fast_hadamard_transform_kernelI37fast_hadamard_transform_kernel_traitsILi1ELi3EfEEv18HadamardParamsBase
                                        ; -- End function
	.set _Z30fast_hadamard_transform_kernelI37fast_hadamard_transform_kernel_traitsILi1ELi3EfEEv18HadamardParamsBase.num_vgpr, 14
	.set _Z30fast_hadamard_transform_kernelI37fast_hadamard_transform_kernel_traitsILi1ELi3EfEEv18HadamardParamsBase.num_agpr, 0
	.set _Z30fast_hadamard_transform_kernelI37fast_hadamard_transform_kernel_traitsILi1ELi3EfEEv18HadamardParamsBase.numbered_sgpr, 23
	.set _Z30fast_hadamard_transform_kernelI37fast_hadamard_transform_kernel_traitsILi1ELi3EfEEv18HadamardParamsBase.num_named_barrier, 0
	.set _Z30fast_hadamard_transform_kernelI37fast_hadamard_transform_kernel_traitsILi1ELi3EfEEv18HadamardParamsBase.private_seg_size, 0
	.set _Z30fast_hadamard_transform_kernelI37fast_hadamard_transform_kernel_traitsILi1ELi3EfEEv18HadamardParamsBase.uses_vcc, 1
	.set _Z30fast_hadamard_transform_kernelI37fast_hadamard_transform_kernel_traitsILi1ELi3EfEEv18HadamardParamsBase.uses_flat_scratch, 0
	.set _Z30fast_hadamard_transform_kernelI37fast_hadamard_transform_kernel_traitsILi1ELi3EfEEv18HadamardParamsBase.has_dyn_sized_stack, 0
	.set _Z30fast_hadamard_transform_kernelI37fast_hadamard_transform_kernel_traitsILi1ELi3EfEEv18HadamardParamsBase.has_recursion, 0
	.set _Z30fast_hadamard_transform_kernelI37fast_hadamard_transform_kernel_traitsILi1ELi3EfEEv18HadamardParamsBase.has_indirect_call, 0
	.section	.AMDGPU.csdata,"",@progbits
; Kernel info:
; codeLenInByte = 436
; TotalNumSgprs: 27
; NumVgprs: 14
; ScratchSize: 0
; MemoryBound: 0
; FloatMode: 240
; IeeeMode: 1
; LDSByteSize: 0 bytes/workgroup (compile time only)
; SGPRBlocks: 3
; VGPRBlocks: 3
; NumSGPRsForWavesPerEU: 27
; NumVGPRsForWavesPerEU: 14
; Occupancy: 10
; WaveLimiterHint : 0
; COMPUTE_PGM_RSRC2:SCRATCH_EN: 0
; COMPUTE_PGM_RSRC2:USER_SGPR: 6
; COMPUTE_PGM_RSRC2:TRAP_HANDLER: 0
; COMPUTE_PGM_RSRC2:TGID_X_EN: 1
; COMPUTE_PGM_RSRC2:TGID_Y_EN: 0
; COMPUTE_PGM_RSRC2:TGID_Z_EN: 0
; COMPUTE_PGM_RSRC2:TIDIG_COMP_CNT: 0
	.section	.text._Z30fast_hadamard_transform_kernelI37fast_hadamard_transform_kernel_traitsILi2ELi4EfEEv18HadamardParamsBase,"axG",@progbits,_Z30fast_hadamard_transform_kernelI37fast_hadamard_transform_kernel_traitsILi2ELi4EfEEv18HadamardParamsBase,comdat
	.protected	_Z30fast_hadamard_transform_kernelI37fast_hadamard_transform_kernel_traitsILi2ELi4EfEEv18HadamardParamsBase ; -- Begin function _Z30fast_hadamard_transform_kernelI37fast_hadamard_transform_kernel_traitsILi2ELi4EfEEv18HadamardParamsBase
	.globl	_Z30fast_hadamard_transform_kernelI37fast_hadamard_transform_kernel_traitsILi2ELi4EfEEv18HadamardParamsBase
	.p2align	8
	.type	_Z30fast_hadamard_transform_kernelI37fast_hadamard_transform_kernel_traitsILi2ELi4EfEEv18HadamardParamsBase,@function
_Z30fast_hadamard_transform_kernelI37fast_hadamard_transform_kernel_traitsILi2ELi4EfEEv18HadamardParamsBase: ; @_Z30fast_hadamard_transform_kernelI37fast_hadamard_transform_kernel_traitsILi2ELi4EfEEv18HadamardParamsBase
; %bb.0:
	s_load_dwordx4 s[12:15], s[4:5], 0x10
	s_load_dword s16, s[4:5], 0x4
	s_load_dwordx4 s[8:11], s[4:5], 0x28
	s_ashr_i32 s7, s6, 31
	v_lshlrev_b32_e32 v1, 2, v0
	s_waitcnt lgkmcnt(0)
	s_mul_hi_u32 s0, s12, s6
	s_mul_i32 s1, s12, s7
	s_add_i32 s0, s0, s1
	s_mul_i32 s1, s13, s6
	s_add_i32 s1, s0, s1
	s_mul_i32 s0, s12, s6
	s_load_dword s12, s[4:5], 0x44
	s_lshl_b64 s[0:1], s[0:1], 2
	s_add_u32 s2, s8, s0
	s_addc_u32 s3, s9, s1
	v_cmp_gt_u32_e32 vcc, s16, v1
	v_mov_b32_e32 v1, 0
	v_lshlrev_b32_e32 v9, 4, v0
	v_mov_b32_e32 v5, 0
	v_mov_b32_e32 v6, 0
	;; [unrolled: 1-line block ×4, first 2 shown]
	s_and_saveexec_b64 s[0:1], vcc
	s_cbranch_execz .LBB1_2
; %bb.1:
	global_load_dwordx4 v[5:8], v9, s[2:3]
.LBB1_2:
	s_or_b64 exec, exec, s[0:1]
	s_waitcnt lgkmcnt(0)
	s_and_b32 s0, 0xffff, s12
	v_add_u32_e32 v2, s0, v0
	v_lshlrev_b32_e32 v3, 2, v2
	v_cmp_gt_u32_e64 s[0:1], s16, v3
	v_lshlrev_b32_e32 v10, 4, v2
	v_mov_b32_e32 v2, 0
	v_mov_b32_e32 v3, 0
	;; [unrolled: 1-line block ×3, first 2 shown]
	s_and_saveexec_b64 s[8:9], s[0:1]
	s_cbranch_execz .LBB1_4
; %bb.3:
	global_load_dwordx4 v[1:4], v10, s[2:3]
.LBB1_4:
	s_or_b64 exec, exec, s[8:9]
	v_mbcnt_lo_u32_b32 v12, -1, 0
	v_mbcnt_hi_u32_b32 v12, -1, v12
	v_and_b32_e32 v14, 64, v12
	v_xor_b32_e32 v13, 1, v12
	v_add_u32_e32 v14, 64, v14
	v_cmp_lt_i32_e64 s[2:3], v13, v14
	s_waitcnt vmcnt(0)
	v_add_f32_e32 v11, v5, v6
	v_sub_f32_e32 v5, v5, v6
	v_add_f32_e32 v6, v1, v2
	v_sub_f32_e32 v1, v1, v2
	;; [unrolled: 2-line block ×3, first 2 shown]
	v_add_f32_e32 v8, v3, v4
	v_cndmask_b32_e64 v12, v12, v13, s[2:3]
	v_sub_f32_e32 v3, v3, v4
	v_add_f32_e32 v4, v11, v2
	v_sub_f32_e32 v2, v11, v2
	v_add_f32_e32 v11, v6, v8
	;; [unrolled: 2-line block ×3, first 2 shown]
	v_lshlrev_b32_e32 v12, 2, v12
	v_sub_f32_e32 v5, v5, v7
	v_add_f32_e32 v7, v1, v3
	v_sub_f32_e32 v14, v1, v3
	ds_bpermute_b32 v1, v12, v8
	ds_bpermute_b32 v3, v12, v2
	v_cmp_eq_u32_e64 s[2:3], 0, v0
	ds_bpermute_b32 v13, v12, v4
	v_cndmask_b32_e64 v0, -v4, v4, s[2:3]
	v_cndmask_b32_e64 v4, -v8, v8, s[2:3]
	s_waitcnt lgkmcnt(2)
	v_add_f32_e32 v1, v4, v1
	ds_bpermute_b32 v4, v12, v5
	v_cndmask_b32_e64 v2, -v2, v2, s[2:3]
	s_waitcnt lgkmcnt(2)
	v_add_f32_e32 v2, v2, v3
	ds_bpermute_b32 v8, v12, v11
	v_cndmask_b32_e64 v3, -v5, v5, s[2:3]
	ds_bpermute_b32 v5, v12, v7
	s_waitcnt lgkmcnt(2)
	v_add_f32_e32 v3, v3, v4
	v_cndmask_b32_e64 v4, -v11, v11, s[2:3]
	v_cndmask_b32_e64 v7, -v7, v7, s[2:3]
	s_waitcnt lgkmcnt(1)
	v_add_f32_e32 v4, v4, v8
	ds_bpermute_b32 v8, v12, v6
	ds_bpermute_b32 v11, v12, v14
	s_waitcnt lgkmcnt(2)
	v_add_f32_e32 v5, v7, v5
	v_cndmask_b32_e64 v6, -v6, v6, s[2:3]
	v_cndmask_b32_e64 v7, -v14, v14, s[2:3]
	s_mul_i32 s2, s14, s7
	s_mul_hi_u32 s3, s14, s6
	s_load_dword s8, s[4:5], 0x20
	s_add_i32 s2, s3, s2
	s_mul_i32 s3, s15, s6
	s_add_i32 s3, s2, s3
	s_mul_i32 s2, s14, s6
	s_lshl_b64 s[2:3], s[2:3], 2
	s_add_u32 s2, s10, s2
	v_add_f32_e32 v0, v0, v13
	s_waitcnt lgkmcnt(0)
	v_add_f32_e32 v6, v6, v8
	v_add_f32_e32 v7, v7, v11
	s_addc_u32 s3, s11, s3
	s_and_saveexec_b64 s[4:5], vcc
	s_cbranch_execnz .LBB1_7
; %bb.5:
	s_or_b64 exec, exec, s[4:5]
	s_and_saveexec_b64 s[4:5], s[0:1]
	s_cbranch_execnz .LBB1_8
.LBB1_6:
	s_endpgm
.LBB1_7:
	v_add_f32_e32 v8, v3, v7
	v_add_f32_e32 v11, v2, v6
	;; [unrolled: 1-line block ×4, first 2 shown]
	v_mul_f32_e32 v14, s8, v8
	v_mul_f32_e32 v13, s8, v11
	;; [unrolled: 1-line block ×4, first 2 shown]
	global_store_dwordx4 v9, v[11:14], s[2:3]
	s_or_b64 exec, exec, s[4:5]
	s_and_saveexec_b64 s[4:5], s[0:1]
	s_cbranch_execz .LBB1_6
.LBB1_8:
	v_sub_f32_e32 v0, v0, v4
	v_sub_f32_e32 v1, v1, v5
	;; [unrolled: 1-line block ×4, first 2 shown]
	v_mul_f32_e32 v0, s8, v0
	v_mul_f32_e32 v1, s8, v1
	;; [unrolled: 1-line block ×4, first 2 shown]
	global_store_dwordx4 v10, v[0:3], s[2:3]
	s_endpgm
	.section	.rodata,"a",@progbits
	.p2align	6, 0x0
	.amdhsa_kernel _Z30fast_hadamard_transform_kernelI37fast_hadamard_transform_kernel_traitsILi2ELi4EfEEv18HadamardParamsBase
		.amdhsa_group_segment_fixed_size 0
		.amdhsa_private_segment_fixed_size 0
		.amdhsa_kernarg_size 312
		.amdhsa_user_sgpr_count 6
		.amdhsa_user_sgpr_private_segment_buffer 1
		.amdhsa_user_sgpr_dispatch_ptr 0
		.amdhsa_user_sgpr_queue_ptr 0
		.amdhsa_user_sgpr_kernarg_segment_ptr 1
		.amdhsa_user_sgpr_dispatch_id 0
		.amdhsa_user_sgpr_flat_scratch_init 0
		.amdhsa_user_sgpr_private_segment_size 0
		.amdhsa_uses_dynamic_stack 0
		.amdhsa_system_sgpr_private_segment_wavefront_offset 0
		.amdhsa_system_sgpr_workgroup_id_x 1
		.amdhsa_system_sgpr_workgroup_id_y 0
		.amdhsa_system_sgpr_workgroup_id_z 0
		.amdhsa_system_sgpr_workgroup_info 0
		.amdhsa_system_vgpr_workitem_id 0
		.amdhsa_next_free_vgpr 16
		.amdhsa_next_free_sgpr 17
		.amdhsa_reserve_vcc 1
		.amdhsa_reserve_flat_scratch 0
		.amdhsa_float_round_mode_32 0
		.amdhsa_float_round_mode_16_64 0
		.amdhsa_float_denorm_mode_32 3
		.amdhsa_float_denorm_mode_16_64 3
		.amdhsa_dx10_clamp 1
		.amdhsa_ieee_mode 1
		.amdhsa_fp16_overflow 0
		.amdhsa_exception_fp_ieee_invalid_op 0
		.amdhsa_exception_fp_denorm_src 0
		.amdhsa_exception_fp_ieee_div_zero 0
		.amdhsa_exception_fp_ieee_overflow 0
		.amdhsa_exception_fp_ieee_underflow 0
		.amdhsa_exception_fp_ieee_inexact 0
		.amdhsa_exception_int_div_zero 0
	.end_amdhsa_kernel
	.section	.text._Z30fast_hadamard_transform_kernelI37fast_hadamard_transform_kernel_traitsILi2ELi4EfEEv18HadamardParamsBase,"axG",@progbits,_Z30fast_hadamard_transform_kernelI37fast_hadamard_transform_kernel_traitsILi2ELi4EfEEv18HadamardParamsBase,comdat
.Lfunc_end1:
	.size	_Z30fast_hadamard_transform_kernelI37fast_hadamard_transform_kernel_traitsILi2ELi4EfEEv18HadamardParamsBase, .Lfunc_end1-_Z30fast_hadamard_transform_kernelI37fast_hadamard_transform_kernel_traitsILi2ELi4EfEEv18HadamardParamsBase
                                        ; -- End function
	.set _Z30fast_hadamard_transform_kernelI37fast_hadamard_transform_kernel_traitsILi2ELi4EfEEv18HadamardParamsBase.num_vgpr, 16
	.set _Z30fast_hadamard_transform_kernelI37fast_hadamard_transform_kernel_traitsILi2ELi4EfEEv18HadamardParamsBase.num_agpr, 0
	.set _Z30fast_hadamard_transform_kernelI37fast_hadamard_transform_kernel_traitsILi2ELi4EfEEv18HadamardParamsBase.numbered_sgpr, 17
	.set _Z30fast_hadamard_transform_kernelI37fast_hadamard_transform_kernel_traitsILi2ELi4EfEEv18HadamardParamsBase.num_named_barrier, 0
	.set _Z30fast_hadamard_transform_kernelI37fast_hadamard_transform_kernel_traitsILi2ELi4EfEEv18HadamardParamsBase.private_seg_size, 0
	.set _Z30fast_hadamard_transform_kernelI37fast_hadamard_transform_kernel_traitsILi2ELi4EfEEv18HadamardParamsBase.uses_vcc, 1
	.set _Z30fast_hadamard_transform_kernelI37fast_hadamard_transform_kernel_traitsILi2ELi4EfEEv18HadamardParamsBase.uses_flat_scratch, 0
	.set _Z30fast_hadamard_transform_kernelI37fast_hadamard_transform_kernel_traitsILi2ELi4EfEEv18HadamardParamsBase.has_dyn_sized_stack, 0
	.set _Z30fast_hadamard_transform_kernelI37fast_hadamard_transform_kernel_traitsILi2ELi4EfEEv18HadamardParamsBase.has_recursion, 0
	.set _Z30fast_hadamard_transform_kernelI37fast_hadamard_transform_kernel_traitsILi2ELi4EfEEv18HadamardParamsBase.has_indirect_call, 0
	.section	.AMDGPU.csdata,"",@progbits
; Kernel info:
; codeLenInByte = 664
; TotalNumSgprs: 21
; NumVgprs: 16
; ScratchSize: 0
; MemoryBound: 0
; FloatMode: 240
; IeeeMode: 1
; LDSByteSize: 0 bytes/workgroup (compile time only)
; SGPRBlocks: 2
; VGPRBlocks: 3
; NumSGPRsForWavesPerEU: 21
; NumVGPRsForWavesPerEU: 16
; Occupancy: 10
; WaveLimiterHint : 0
; COMPUTE_PGM_RSRC2:SCRATCH_EN: 0
; COMPUTE_PGM_RSRC2:USER_SGPR: 6
; COMPUTE_PGM_RSRC2:TRAP_HANDLER: 0
; COMPUTE_PGM_RSRC2:TGID_X_EN: 1
; COMPUTE_PGM_RSRC2:TGID_Y_EN: 0
; COMPUTE_PGM_RSRC2:TGID_Z_EN: 0
; COMPUTE_PGM_RSRC2:TIDIG_COMP_CNT: 0
	.section	.text._Z30fast_hadamard_transform_kernelI37fast_hadamard_transform_kernel_traitsILi4ELi5EfEEv18HadamardParamsBase,"axG",@progbits,_Z30fast_hadamard_transform_kernelI37fast_hadamard_transform_kernel_traitsILi4ELi5EfEEv18HadamardParamsBase,comdat
	.protected	_Z30fast_hadamard_transform_kernelI37fast_hadamard_transform_kernel_traitsILi4ELi5EfEEv18HadamardParamsBase ; -- Begin function _Z30fast_hadamard_transform_kernelI37fast_hadamard_transform_kernel_traitsILi4ELi5EfEEv18HadamardParamsBase
	.globl	_Z30fast_hadamard_transform_kernelI37fast_hadamard_transform_kernel_traitsILi4ELi5EfEEv18HadamardParamsBase
	.p2align	8
	.type	_Z30fast_hadamard_transform_kernelI37fast_hadamard_transform_kernel_traitsILi4ELi5EfEEv18HadamardParamsBase,@function
_Z30fast_hadamard_transform_kernelI37fast_hadamard_transform_kernel_traitsILi4ELi5EfEEv18HadamardParamsBase: ; @_Z30fast_hadamard_transform_kernelI37fast_hadamard_transform_kernel_traitsILi4ELi5EfEEv18HadamardParamsBase
; %bb.0:
	s_load_dwordx4 s[12:15], s[4:5], 0x10
	s_load_dword s16, s[4:5], 0x4
	s_load_dwordx4 s[8:11], s[4:5], 0x28
	s_ashr_i32 s7, s6, 31
	v_lshlrev_b32_e32 v1, 2, v0
	s_waitcnt lgkmcnt(0)
	s_mul_hi_u32 s0, s12, s6
	s_mul_i32 s1, s12, s7
	s_add_i32 s0, s0, s1
	s_mul_i32 s1, s13, s6
	s_add_i32 s1, s0, s1
	s_mul_i32 s0, s12, s6
	s_load_dword s12, s[4:5], 0x44
	s_lshl_b64 s[0:1], s[0:1], 2
	s_add_u32 s2, s8, s0
	s_addc_u32 s3, s9, s1
	v_cmp_gt_u32_e32 vcc, s16, v1
	v_mov_b32_e32 v1, 0
	v_lshlrev_b32_e32 v9, 4, v0
	v_mov_b32_e32 v5, 0
	v_mov_b32_e32 v6, 0
	;; [unrolled: 1-line block ×4, first 2 shown]
	s_and_saveexec_b64 s[0:1], vcc
	s_cbranch_execz .LBB2_2
; %bb.1:
	global_load_dwordx4 v[5:8], v9, s[2:3]
.LBB2_2:
	s_or_b64 exec, exec, s[0:1]
	s_waitcnt lgkmcnt(0)
	s_and_b32 s0, 0xffff, s12
	v_add_u32_e32 v2, s0, v0
	v_lshlrev_b32_e32 v3, 2, v2
	v_cmp_gt_u32_e64 s[0:1], s16, v3
	v_lshlrev_b32_e32 v10, 4, v2
	v_mov_b32_e32 v2, 0
	v_mov_b32_e32 v3, 0
	;; [unrolled: 1-line block ×3, first 2 shown]
	s_and_saveexec_b64 s[8:9], s[0:1]
	s_cbranch_execz .LBB2_4
; %bb.3:
	global_load_dwordx4 v[1:4], v10, s[2:3]
.LBB2_4:
	s_or_b64 exec, exec, s[8:9]
	s_waitcnt vmcnt(0)
	v_add_f32_e32 v11, v5, v6
	v_sub_f32_e32 v5, v5, v6
	v_add_f32_e32 v6, v1, v2
	v_sub_f32_e32 v1, v1, v2
	;; [unrolled: 2-line block ×8, first 2 shown]
	v_mbcnt_lo_u32_b32 v3, -1, 0
	v_mbcnt_hi_u32_b32 v3, -1, v3
	v_and_b32_e32 v12, 64, v3
	v_add_u32_e32 v12, 64, v12
	v_xor_b32_e32 v13, 1, v3
	v_cmp_lt_i32_e64 s[2:3], v13, v12
	v_cndmask_b32_e64 v13, v3, v13, s[2:3]
	v_lshlrev_b32_e32 v13, 2, v13
	ds_bpermute_b32 v14, v13, v4
	v_and_b32_e32 v15, 1, v0
	v_cmp_eq_u32_e64 s[2:3], 0, v15
	v_cndmask_b32_e64 v4, -v4, v4, s[2:3]
	ds_bpermute_b32 v15, v13, v5
	s_waitcnt lgkmcnt(1)
	v_add_f32_e32 v4, v4, v14
	ds_bpermute_b32 v14, v13, v2
	v_cndmask_b32_e64 v2, -v2, v2, s[2:3]
	v_cndmask_b32_e64 v5, -v5, v5, s[2:3]
	ds_bpermute_b32 v16, v13, v8
	s_waitcnt lgkmcnt(2)
	v_add_f32_e32 v5, v5, v15
	s_waitcnt lgkmcnt(1)
	v_add_f32_e32 v2, v2, v14
	ds_bpermute_b32 v14, v13, v11
	v_cndmask_b32_e64 v11, -v11, v11, s[2:3]
	ds_bpermute_b32 v15, v13, v7
	v_cndmask_b32_e64 v8, -v8, v8, s[2:3]
	v_cndmask_b32_e64 v7, -v7, v7, s[2:3]
	s_waitcnt lgkmcnt(1)
	v_add_f32_e32 v11, v11, v14
	ds_bpermute_b32 v14, v13, v6
	ds_bpermute_b32 v13, v13, v1
	v_cndmask_b32_e64 v1, -v1, v1, s[2:3]
	v_cndmask_b32_e64 v6, -v6, v6, s[2:3]
	v_add_f32_e32 v8, v8, v16
	v_and_b32_e32 v0, 2, v0
	s_waitcnt lgkmcnt(0)
	v_add_f32_e32 v13, v1, v13
	v_xor_b32_e32 v1, 2, v3
	v_cmp_lt_i32_e64 s[2:3], v1, v12
	v_cndmask_b32_e64 v1, v3, v1, s[2:3]
	v_lshlrev_b32_e32 v12, 2, v1
	ds_bpermute_b32 v1, v12, v4
	ds_bpermute_b32 v3, v12, v8
	v_cmp_eq_u32_e64 s[2:3], 0, v0
	v_cndmask_b32_e64 v0, -v4, v4, s[2:3]
	ds_bpermute_b32 v4, v12, v2
	s_waitcnt lgkmcnt(2)
	v_add_f32_e32 v0, v0, v1
	v_cndmask_b32_e64 v1, -v8, v8, s[2:3]
	s_waitcnt lgkmcnt(1)
	v_add_f32_e32 v1, v1, v3
	ds_bpermute_b32 v3, v12, v5
	v_cndmask_b32_e64 v2, -v2, v2, s[2:3]
	v_add_f32_e32 v7, v7, v15
	s_waitcnt lgkmcnt(1)
	v_add_f32_e32 v2, v2, v4
	ds_bpermute_b32 v4, v12, v11
	ds_bpermute_b32 v8, v12, v7
	v_cndmask_b32_e64 v5, -v5, v5, s[2:3]
	s_waitcnt lgkmcnt(2)
	v_add_f32_e32 v3, v5, v3
	v_cndmask_b32_e64 v5, -v11, v11, s[2:3]
	v_add_f32_e32 v6, v6, v14
	s_waitcnt lgkmcnt(1)
	v_add_f32_e32 v4, v5, v4
	v_cndmask_b32_e64 v5, -v7, v7, s[2:3]
	ds_bpermute_b32 v11, v12, v6
	ds_bpermute_b32 v7, v12, v13
	s_waitcnt lgkmcnt(2)
	v_add_f32_e32 v5, v5, v8
	v_cndmask_b32_e64 v6, -v6, v6, s[2:3]
	v_cndmask_b32_e64 v8, -v13, v13, s[2:3]
	s_mul_i32 s2, s14, s7
	s_mul_hi_u32 s3, s14, s6
	s_load_dword s8, s[4:5], 0x20
	s_add_i32 s2, s3, s2
	s_mul_i32 s3, s15, s6
	s_add_i32 s3, s2, s3
	s_mul_i32 s2, s14, s6
	s_lshl_b64 s[2:3], s[2:3], 2
	s_add_u32 s2, s10, s2
	s_waitcnt lgkmcnt(0)
	v_add_f32_e32 v6, v6, v11
	v_add_f32_e32 v7, v8, v7
	s_addc_u32 s3, s11, s3
	s_and_saveexec_b64 s[4:5], vcc
	s_cbranch_execnz .LBB2_7
; %bb.5:
	s_or_b64 exec, exec, s[4:5]
	s_and_saveexec_b64 s[4:5], s[0:1]
	s_cbranch_execnz .LBB2_8
.LBB2_6:
	s_endpgm
.LBB2_7:
	v_add_f32_e32 v8, v3, v7
	v_add_f32_e32 v11, v2, v6
	v_add_f32_e32 v12, v1, v5
	v_add_f32_e32 v15, v0, v4
	v_mul_f32_e32 v14, s8, v8
	v_mul_f32_e32 v13, s8, v11
	;; [unrolled: 1-line block ×4, first 2 shown]
	global_store_dwordx4 v9, v[11:14], s[2:3]
	s_or_b64 exec, exec, s[4:5]
	s_and_saveexec_b64 s[4:5], s[0:1]
	s_cbranch_execz .LBB2_6
.LBB2_8:
	v_sub_f32_e32 v0, v0, v4
	v_sub_f32_e32 v1, v1, v5
	;; [unrolled: 1-line block ×4, first 2 shown]
	v_mul_f32_e32 v0, s8, v0
	v_mul_f32_e32 v1, s8, v1
	v_mul_f32_e32 v2, s8, v2
	v_mul_f32_e32 v3, s8, v3
	global_store_dwordx4 v10, v[0:3], s[2:3]
	s_endpgm
	.section	.rodata,"a",@progbits
	.p2align	6, 0x0
	.amdhsa_kernel _Z30fast_hadamard_transform_kernelI37fast_hadamard_transform_kernel_traitsILi4ELi5EfEEv18HadamardParamsBase
		.amdhsa_group_segment_fixed_size 0
		.amdhsa_private_segment_fixed_size 0
		.amdhsa_kernarg_size 312
		.amdhsa_user_sgpr_count 6
		.amdhsa_user_sgpr_private_segment_buffer 1
		.amdhsa_user_sgpr_dispatch_ptr 0
		.amdhsa_user_sgpr_queue_ptr 0
		.amdhsa_user_sgpr_kernarg_segment_ptr 1
		.amdhsa_user_sgpr_dispatch_id 0
		.amdhsa_user_sgpr_flat_scratch_init 0
		.amdhsa_user_sgpr_private_segment_size 0
		.amdhsa_uses_dynamic_stack 0
		.amdhsa_system_sgpr_private_segment_wavefront_offset 0
		.amdhsa_system_sgpr_workgroup_id_x 1
		.amdhsa_system_sgpr_workgroup_id_y 0
		.amdhsa_system_sgpr_workgroup_id_z 0
		.amdhsa_system_sgpr_workgroup_info 0
		.amdhsa_system_vgpr_workitem_id 0
		.amdhsa_next_free_vgpr 17
		.amdhsa_next_free_sgpr 17
		.amdhsa_reserve_vcc 1
		.amdhsa_reserve_flat_scratch 0
		.amdhsa_float_round_mode_32 0
		.amdhsa_float_round_mode_16_64 0
		.amdhsa_float_denorm_mode_32 3
		.amdhsa_float_denorm_mode_16_64 3
		.amdhsa_dx10_clamp 1
		.amdhsa_ieee_mode 1
		.amdhsa_fp16_overflow 0
		.amdhsa_exception_fp_ieee_invalid_op 0
		.amdhsa_exception_fp_denorm_src 0
		.amdhsa_exception_fp_ieee_div_zero 0
		.amdhsa_exception_fp_ieee_overflow 0
		.amdhsa_exception_fp_ieee_underflow 0
		.amdhsa_exception_fp_ieee_inexact 0
		.amdhsa_exception_int_div_zero 0
	.end_amdhsa_kernel
	.section	.text._Z30fast_hadamard_transform_kernelI37fast_hadamard_transform_kernel_traitsILi4ELi5EfEEv18HadamardParamsBase,"axG",@progbits,_Z30fast_hadamard_transform_kernelI37fast_hadamard_transform_kernel_traitsILi4ELi5EfEEv18HadamardParamsBase,comdat
.Lfunc_end2:
	.size	_Z30fast_hadamard_transform_kernelI37fast_hadamard_transform_kernel_traitsILi4ELi5EfEEv18HadamardParamsBase, .Lfunc_end2-_Z30fast_hadamard_transform_kernelI37fast_hadamard_transform_kernel_traitsILi4ELi5EfEEv18HadamardParamsBase
                                        ; -- End function
	.set _Z30fast_hadamard_transform_kernelI37fast_hadamard_transform_kernel_traitsILi4ELi5EfEEv18HadamardParamsBase.num_vgpr, 17
	.set _Z30fast_hadamard_transform_kernelI37fast_hadamard_transform_kernel_traitsILi4ELi5EfEEv18HadamardParamsBase.num_agpr, 0
	.set _Z30fast_hadamard_transform_kernelI37fast_hadamard_transform_kernel_traitsILi4ELi5EfEEv18HadamardParamsBase.numbered_sgpr, 17
	.set _Z30fast_hadamard_transform_kernelI37fast_hadamard_transform_kernel_traitsILi4ELi5EfEEv18HadamardParamsBase.num_named_barrier, 0
	.set _Z30fast_hadamard_transform_kernelI37fast_hadamard_transform_kernel_traitsILi4ELi5EfEEv18HadamardParamsBase.private_seg_size, 0
	.set _Z30fast_hadamard_transform_kernelI37fast_hadamard_transform_kernel_traitsILi4ELi5EfEEv18HadamardParamsBase.uses_vcc, 1
	.set _Z30fast_hadamard_transform_kernelI37fast_hadamard_transform_kernel_traitsILi4ELi5EfEEv18HadamardParamsBase.uses_flat_scratch, 0
	.set _Z30fast_hadamard_transform_kernelI37fast_hadamard_transform_kernel_traitsILi4ELi5EfEEv18HadamardParamsBase.has_dyn_sized_stack, 0
	.set _Z30fast_hadamard_transform_kernelI37fast_hadamard_transform_kernel_traitsILi4ELi5EfEEv18HadamardParamsBase.has_recursion, 0
	.set _Z30fast_hadamard_transform_kernelI37fast_hadamard_transform_kernel_traitsILi4ELi5EfEEv18HadamardParamsBase.has_indirect_call, 0
	.section	.AMDGPU.csdata,"",@progbits
; Kernel info:
; codeLenInByte = 888
; TotalNumSgprs: 21
; NumVgprs: 17
; ScratchSize: 0
; MemoryBound: 0
; FloatMode: 240
; IeeeMode: 1
; LDSByteSize: 0 bytes/workgroup (compile time only)
; SGPRBlocks: 2
; VGPRBlocks: 4
; NumSGPRsForWavesPerEU: 21
; NumVGPRsForWavesPerEU: 17
; Occupancy: 10
; WaveLimiterHint : 0
; COMPUTE_PGM_RSRC2:SCRATCH_EN: 0
; COMPUTE_PGM_RSRC2:USER_SGPR: 6
; COMPUTE_PGM_RSRC2:TRAP_HANDLER: 0
; COMPUTE_PGM_RSRC2:TGID_X_EN: 1
; COMPUTE_PGM_RSRC2:TGID_Y_EN: 0
; COMPUTE_PGM_RSRC2:TGID_Z_EN: 0
; COMPUTE_PGM_RSRC2:TIDIG_COMP_CNT: 0
	.section	.text._Z30fast_hadamard_transform_kernelI37fast_hadamard_transform_kernel_traitsILi8ELi6EfEEv18HadamardParamsBase,"axG",@progbits,_Z30fast_hadamard_transform_kernelI37fast_hadamard_transform_kernel_traitsILi8ELi6EfEEv18HadamardParamsBase,comdat
	.protected	_Z30fast_hadamard_transform_kernelI37fast_hadamard_transform_kernel_traitsILi8ELi6EfEEv18HadamardParamsBase ; -- Begin function _Z30fast_hadamard_transform_kernelI37fast_hadamard_transform_kernel_traitsILi8ELi6EfEEv18HadamardParamsBase
	.globl	_Z30fast_hadamard_transform_kernelI37fast_hadamard_transform_kernel_traitsILi8ELi6EfEEv18HadamardParamsBase
	.p2align	8
	.type	_Z30fast_hadamard_transform_kernelI37fast_hadamard_transform_kernel_traitsILi8ELi6EfEEv18HadamardParamsBase,@function
_Z30fast_hadamard_transform_kernelI37fast_hadamard_transform_kernel_traitsILi8ELi6EfEEv18HadamardParamsBase: ; @_Z30fast_hadamard_transform_kernelI37fast_hadamard_transform_kernel_traitsILi8ELi6EfEEv18HadamardParamsBase
; %bb.0:
	s_load_dwordx4 s[12:15], s[4:5], 0x10
	s_load_dword s16, s[4:5], 0x4
	s_load_dwordx4 s[8:11], s[4:5], 0x28
	s_ashr_i32 s7, s6, 31
	v_lshlrev_b32_e32 v1, 2, v0
	s_waitcnt lgkmcnt(0)
	s_mul_hi_u32 s0, s12, s6
	s_mul_i32 s1, s12, s7
	s_add_i32 s0, s0, s1
	s_mul_i32 s1, s13, s6
	s_add_i32 s1, s0, s1
	s_mul_i32 s0, s12, s6
	s_load_dword s12, s[4:5], 0x44
	s_lshl_b64 s[0:1], s[0:1], 2
	s_add_u32 s2, s8, s0
	s_addc_u32 s3, s9, s1
	v_cmp_gt_u32_e32 vcc, s16, v1
	v_mov_b32_e32 v1, 0
	v_lshlrev_b32_e32 v9, 4, v0
	v_mov_b32_e32 v5, 0
	v_mov_b32_e32 v6, 0
	v_mov_b32_e32 v7, 0
	v_mov_b32_e32 v8, 0
	s_and_saveexec_b64 s[0:1], vcc
	s_cbranch_execz .LBB3_2
; %bb.1:
	global_load_dwordx4 v[5:8], v9, s[2:3]
.LBB3_2:
	s_or_b64 exec, exec, s[0:1]
	s_waitcnt lgkmcnt(0)
	s_and_b32 s0, 0xffff, s12
	v_add_u32_e32 v2, s0, v0
	v_lshlrev_b32_e32 v3, 2, v2
	v_cmp_gt_u32_e64 s[0:1], s16, v3
	v_lshlrev_b32_e32 v10, 4, v2
	v_mov_b32_e32 v2, 0
	v_mov_b32_e32 v3, 0
	;; [unrolled: 1-line block ×3, first 2 shown]
	s_and_saveexec_b64 s[8:9], s[0:1]
	s_cbranch_execz .LBB3_4
; %bb.3:
	global_load_dwordx4 v[1:4], v10, s[2:3]
.LBB3_4:
	s_or_b64 exec, exec, s[8:9]
	s_waitcnt vmcnt(0)
	v_add_f32_e32 v11, v5, v6
	v_sub_f32_e32 v5, v5, v6
	v_add_f32_e32 v6, v1, v2
	v_sub_f32_e32 v1, v1, v2
	;; [unrolled: 2-line block ×8, first 2 shown]
	v_mbcnt_lo_u32_b32 v3, -1, 0
	v_mbcnt_hi_u32_b32 v3, -1, v3
	v_and_b32_e32 v12, 64, v3
	v_add_u32_e32 v12, 64, v12
	v_xor_b32_e32 v13, 1, v3
	v_cmp_lt_i32_e64 s[2:3], v13, v12
	v_cndmask_b32_e64 v13, v3, v13, s[2:3]
	v_lshlrev_b32_e32 v13, 2, v13
	ds_bpermute_b32 v14, v13, v4
	v_and_b32_e32 v15, 1, v0
	v_cmp_eq_u32_e64 s[2:3], 0, v15
	v_cndmask_b32_e64 v4, -v4, v4, s[2:3]
	ds_bpermute_b32 v15, v13, v5
	s_waitcnt lgkmcnt(1)
	v_add_f32_e32 v4, v4, v14
	ds_bpermute_b32 v14, v13, v2
	v_cndmask_b32_e64 v2, -v2, v2, s[2:3]
	v_cndmask_b32_e64 v5, -v5, v5, s[2:3]
	ds_bpermute_b32 v16, v13, v8
	s_waitcnt lgkmcnt(2)
	v_add_f32_e32 v5, v5, v15
	s_waitcnt lgkmcnt(1)
	v_add_f32_e32 v2, v2, v14
	ds_bpermute_b32 v14, v13, v11
	v_cndmask_b32_e64 v11, -v11, v11, s[2:3]
	ds_bpermute_b32 v15, v13, v7
	v_cndmask_b32_e64 v8, -v8, v8, s[2:3]
	v_cndmask_b32_e64 v7, -v7, v7, s[2:3]
	s_waitcnt lgkmcnt(1)
	v_add_f32_e32 v11, v11, v14
	ds_bpermute_b32 v14, v13, v6
	ds_bpermute_b32 v13, v13, v1
	v_cndmask_b32_e64 v1, -v1, v1, s[2:3]
	v_cndmask_b32_e64 v6, -v6, v6, s[2:3]
	s_waitcnt lgkmcnt(2)
	v_add_f32_e32 v7, v7, v15
	s_waitcnt lgkmcnt(1)
	v_add_f32_e32 v6, v6, v14
	;; [unrolled: 2-line block ×3, first 2 shown]
	v_xor_b32_e32 v13, 2, v3
	v_cmp_lt_i32_e64 s[2:3], v13, v12
	v_cndmask_b32_e64 v13, v3, v13, s[2:3]
	v_lshlrev_b32_e32 v13, 2, v13
	ds_bpermute_b32 v14, v13, v4
	v_and_b32_e32 v15, 2, v0
	v_cmp_eq_u32_e64 s[2:3], 0, v15
	v_cndmask_b32_e64 v4, -v4, v4, s[2:3]
	ds_bpermute_b32 v15, v13, v5
	s_waitcnt lgkmcnt(1)
	v_add_f32_e32 v4, v4, v14
	ds_bpermute_b32 v14, v13, v2
	v_cndmask_b32_e64 v2, -v2, v2, s[2:3]
	v_add_f32_e32 v8, v8, v16
	v_cndmask_b32_e64 v5, -v5, v5, s[2:3]
	ds_bpermute_b32 v16, v13, v8
	s_waitcnt lgkmcnt(1)
	v_add_f32_e32 v2, v2, v14
	ds_bpermute_b32 v14, v13, v11
	v_cndmask_b32_e64 v11, -v11, v11, s[2:3]
	v_add_f32_e32 v5, v5, v15
	ds_bpermute_b32 v15, v13, v7
	v_cndmask_b32_e64 v8, -v8, v8, s[2:3]
	s_waitcnt lgkmcnt(1)
	v_add_f32_e32 v11, v11, v14
	ds_bpermute_b32 v14, v13, v6
	ds_bpermute_b32 v13, v13, v1
	v_cndmask_b32_e64 v1, -v1, v1, s[2:3]
	v_cndmask_b32_e64 v7, -v7, v7, s[2:3]
	;; [unrolled: 1-line block ×3, first 2 shown]
	v_add_f32_e32 v8, v8, v16
	s_waitcnt lgkmcnt(0)
	v_add_f32_e32 v13, v1, v13
	v_xor_b32_e32 v1, 4, v3
	v_cmp_lt_i32_e64 s[2:3], v1, v12
	v_cndmask_b32_e64 v1, v3, v1, s[2:3]
	v_lshlrev_b32_e32 v12, 2, v1
	ds_bpermute_b32 v1, v12, v4
	v_and_b32_e32 v0, 4, v0
	ds_bpermute_b32 v3, v12, v8
	v_cmp_eq_u32_e64 s[2:3], 0, v0
	v_cndmask_b32_e64 v0, -v4, v4, s[2:3]
	ds_bpermute_b32 v4, v12, v2
	s_waitcnt lgkmcnt(2)
	v_add_f32_e32 v0, v0, v1
	v_cndmask_b32_e64 v1, -v8, v8, s[2:3]
	s_waitcnt lgkmcnt(1)
	v_add_f32_e32 v1, v1, v3
	ds_bpermute_b32 v3, v12, v5
	v_cndmask_b32_e64 v2, -v2, v2, s[2:3]
	v_add_f32_e32 v7, v7, v15
	s_waitcnt lgkmcnt(1)
	v_add_f32_e32 v2, v2, v4
	ds_bpermute_b32 v4, v12, v11
	ds_bpermute_b32 v8, v12, v7
	v_cndmask_b32_e64 v5, -v5, v5, s[2:3]
	s_waitcnt lgkmcnt(2)
	v_add_f32_e32 v3, v5, v3
	v_cndmask_b32_e64 v5, -v11, v11, s[2:3]
	v_add_f32_e32 v6, v6, v14
	s_waitcnt lgkmcnt(1)
	v_add_f32_e32 v4, v5, v4
	v_cndmask_b32_e64 v5, -v7, v7, s[2:3]
	ds_bpermute_b32 v11, v12, v6
	ds_bpermute_b32 v7, v12, v13
	s_waitcnt lgkmcnt(2)
	v_add_f32_e32 v5, v5, v8
	v_cndmask_b32_e64 v6, -v6, v6, s[2:3]
	v_cndmask_b32_e64 v8, -v13, v13, s[2:3]
	s_mul_i32 s2, s14, s7
	s_mul_hi_u32 s3, s14, s6
	s_load_dword s8, s[4:5], 0x20
	s_add_i32 s2, s3, s2
	s_mul_i32 s3, s15, s6
	s_add_i32 s3, s2, s3
	s_mul_i32 s2, s14, s6
	s_lshl_b64 s[2:3], s[2:3], 2
	s_add_u32 s2, s10, s2
	s_waitcnt lgkmcnt(0)
	v_add_f32_e32 v6, v6, v11
	v_add_f32_e32 v7, v8, v7
	s_addc_u32 s3, s11, s3
	s_and_saveexec_b64 s[4:5], vcc
	s_cbranch_execnz .LBB3_7
; %bb.5:
	s_or_b64 exec, exec, s[4:5]
	s_and_saveexec_b64 s[4:5], s[0:1]
	s_cbranch_execnz .LBB3_8
.LBB3_6:
	s_endpgm
.LBB3_7:
	v_add_f32_e32 v8, v3, v7
	v_add_f32_e32 v11, v2, v6
	v_add_f32_e32 v12, v1, v5
	v_add_f32_e32 v15, v0, v4
	v_mul_f32_e32 v14, s8, v8
	v_mul_f32_e32 v13, s8, v11
	v_mul_f32_e32 v12, s8, v12
	v_mul_f32_e32 v11, s8, v15
	global_store_dwordx4 v9, v[11:14], s[2:3]
	s_or_b64 exec, exec, s[4:5]
	s_and_saveexec_b64 s[4:5], s[0:1]
	s_cbranch_execz .LBB3_6
.LBB3_8:
	v_sub_f32_e32 v0, v0, v4
	v_sub_f32_e32 v1, v1, v5
	;; [unrolled: 1-line block ×4, first 2 shown]
	v_mul_f32_e32 v0, s8, v0
	v_mul_f32_e32 v1, s8, v1
	;; [unrolled: 1-line block ×4, first 2 shown]
	global_store_dwordx4 v10, v[0:3], s[2:3]
	s_endpgm
	.section	.rodata,"a",@progbits
	.p2align	6, 0x0
	.amdhsa_kernel _Z30fast_hadamard_transform_kernelI37fast_hadamard_transform_kernel_traitsILi8ELi6EfEEv18HadamardParamsBase
		.amdhsa_group_segment_fixed_size 0
		.amdhsa_private_segment_fixed_size 0
		.amdhsa_kernarg_size 312
		.amdhsa_user_sgpr_count 6
		.amdhsa_user_sgpr_private_segment_buffer 1
		.amdhsa_user_sgpr_dispatch_ptr 0
		.amdhsa_user_sgpr_queue_ptr 0
		.amdhsa_user_sgpr_kernarg_segment_ptr 1
		.amdhsa_user_sgpr_dispatch_id 0
		.amdhsa_user_sgpr_flat_scratch_init 0
		.amdhsa_user_sgpr_private_segment_size 0
		.amdhsa_uses_dynamic_stack 0
		.amdhsa_system_sgpr_private_segment_wavefront_offset 0
		.amdhsa_system_sgpr_workgroup_id_x 1
		.amdhsa_system_sgpr_workgroup_id_y 0
		.amdhsa_system_sgpr_workgroup_id_z 0
		.amdhsa_system_sgpr_workgroup_info 0
		.amdhsa_system_vgpr_workitem_id 0
		.amdhsa_next_free_vgpr 17
		.amdhsa_next_free_sgpr 17
		.amdhsa_reserve_vcc 1
		.amdhsa_reserve_flat_scratch 0
		.amdhsa_float_round_mode_32 0
		.amdhsa_float_round_mode_16_64 0
		.amdhsa_float_denorm_mode_32 3
		.amdhsa_float_denorm_mode_16_64 3
		.amdhsa_dx10_clamp 1
		.amdhsa_ieee_mode 1
		.amdhsa_fp16_overflow 0
		.amdhsa_exception_fp_ieee_invalid_op 0
		.amdhsa_exception_fp_denorm_src 0
		.amdhsa_exception_fp_ieee_div_zero 0
		.amdhsa_exception_fp_ieee_overflow 0
		.amdhsa_exception_fp_ieee_underflow 0
		.amdhsa_exception_fp_ieee_inexact 0
		.amdhsa_exception_int_div_zero 0
	.end_amdhsa_kernel
	.section	.text._Z30fast_hadamard_transform_kernelI37fast_hadamard_transform_kernel_traitsILi8ELi6EfEEv18HadamardParamsBase,"axG",@progbits,_Z30fast_hadamard_transform_kernelI37fast_hadamard_transform_kernel_traitsILi8ELi6EfEEv18HadamardParamsBase,comdat
.Lfunc_end3:
	.size	_Z30fast_hadamard_transform_kernelI37fast_hadamard_transform_kernel_traitsILi8ELi6EfEEv18HadamardParamsBase, .Lfunc_end3-_Z30fast_hadamard_transform_kernelI37fast_hadamard_transform_kernel_traitsILi8ELi6EfEEv18HadamardParamsBase
                                        ; -- End function
	.set _Z30fast_hadamard_transform_kernelI37fast_hadamard_transform_kernel_traitsILi8ELi6EfEEv18HadamardParamsBase.num_vgpr, 17
	.set _Z30fast_hadamard_transform_kernelI37fast_hadamard_transform_kernel_traitsILi8ELi6EfEEv18HadamardParamsBase.num_agpr, 0
	.set _Z30fast_hadamard_transform_kernelI37fast_hadamard_transform_kernel_traitsILi8ELi6EfEEv18HadamardParamsBase.numbered_sgpr, 17
	.set _Z30fast_hadamard_transform_kernelI37fast_hadamard_transform_kernel_traitsILi8ELi6EfEEv18HadamardParamsBase.num_named_barrier, 0
	.set _Z30fast_hadamard_transform_kernelI37fast_hadamard_transform_kernel_traitsILi8ELi6EfEEv18HadamardParamsBase.private_seg_size, 0
	.set _Z30fast_hadamard_transform_kernelI37fast_hadamard_transform_kernel_traitsILi8ELi6EfEEv18HadamardParamsBase.uses_vcc, 1
	.set _Z30fast_hadamard_transform_kernelI37fast_hadamard_transform_kernel_traitsILi8ELi6EfEEv18HadamardParamsBase.uses_flat_scratch, 0
	.set _Z30fast_hadamard_transform_kernelI37fast_hadamard_transform_kernel_traitsILi8ELi6EfEEv18HadamardParamsBase.has_dyn_sized_stack, 0
	.set _Z30fast_hadamard_transform_kernelI37fast_hadamard_transform_kernel_traitsILi8ELi6EfEEv18HadamardParamsBase.has_recursion, 0
	.set _Z30fast_hadamard_transform_kernelI37fast_hadamard_transform_kernel_traitsILi8ELi6EfEEv18HadamardParamsBase.has_indirect_call, 0
	.section	.AMDGPU.csdata,"",@progbits
; Kernel info:
; codeLenInByte = 1108
; TotalNumSgprs: 21
; NumVgprs: 17
; ScratchSize: 0
; MemoryBound: 0
; FloatMode: 240
; IeeeMode: 1
; LDSByteSize: 0 bytes/workgroup (compile time only)
; SGPRBlocks: 2
; VGPRBlocks: 4
; NumSGPRsForWavesPerEU: 21
; NumVGPRsForWavesPerEU: 17
; Occupancy: 10
; WaveLimiterHint : 0
; COMPUTE_PGM_RSRC2:SCRATCH_EN: 0
; COMPUTE_PGM_RSRC2:USER_SGPR: 6
; COMPUTE_PGM_RSRC2:TRAP_HANDLER: 0
; COMPUTE_PGM_RSRC2:TGID_X_EN: 1
; COMPUTE_PGM_RSRC2:TGID_Y_EN: 0
; COMPUTE_PGM_RSRC2:TGID_Z_EN: 0
; COMPUTE_PGM_RSRC2:TIDIG_COMP_CNT: 0
	.section	.text._Z30fast_hadamard_transform_kernelI37fast_hadamard_transform_kernel_traitsILi16ELi7EfEEv18HadamardParamsBase,"axG",@progbits,_Z30fast_hadamard_transform_kernelI37fast_hadamard_transform_kernel_traitsILi16ELi7EfEEv18HadamardParamsBase,comdat
	.protected	_Z30fast_hadamard_transform_kernelI37fast_hadamard_transform_kernel_traitsILi16ELi7EfEEv18HadamardParamsBase ; -- Begin function _Z30fast_hadamard_transform_kernelI37fast_hadamard_transform_kernel_traitsILi16ELi7EfEEv18HadamardParamsBase
	.globl	_Z30fast_hadamard_transform_kernelI37fast_hadamard_transform_kernel_traitsILi16ELi7EfEEv18HadamardParamsBase
	.p2align	8
	.type	_Z30fast_hadamard_transform_kernelI37fast_hadamard_transform_kernel_traitsILi16ELi7EfEEv18HadamardParamsBase,@function
_Z30fast_hadamard_transform_kernelI37fast_hadamard_transform_kernel_traitsILi16ELi7EfEEv18HadamardParamsBase: ; @_Z30fast_hadamard_transform_kernelI37fast_hadamard_transform_kernel_traitsILi16ELi7EfEEv18HadamardParamsBase
; %bb.0:
	s_load_dwordx4 s[12:15], s[4:5], 0x10
	s_load_dword s16, s[4:5], 0x4
	s_load_dwordx4 s[8:11], s[4:5], 0x28
	s_ashr_i32 s7, s6, 31
	v_lshlrev_b32_e32 v1, 2, v0
	s_waitcnt lgkmcnt(0)
	s_mul_hi_u32 s0, s12, s6
	s_mul_i32 s1, s12, s7
	s_add_i32 s0, s0, s1
	s_mul_i32 s1, s13, s6
	s_add_i32 s1, s0, s1
	s_mul_i32 s0, s12, s6
	s_load_dword s12, s[4:5], 0x44
	s_lshl_b64 s[0:1], s[0:1], 2
	s_add_u32 s2, s8, s0
	s_addc_u32 s3, s9, s1
	v_cmp_gt_u32_e32 vcc, s16, v1
	v_mov_b32_e32 v1, 0
	v_lshlrev_b32_e32 v9, 4, v0
	v_mov_b32_e32 v5, 0
	v_mov_b32_e32 v6, 0
	;; [unrolled: 1-line block ×4, first 2 shown]
	s_and_saveexec_b64 s[0:1], vcc
	s_cbranch_execz .LBB4_2
; %bb.1:
	global_load_dwordx4 v[5:8], v9, s[2:3]
.LBB4_2:
	s_or_b64 exec, exec, s[0:1]
	s_waitcnt lgkmcnt(0)
	s_and_b32 s0, 0xffff, s12
	v_add_u32_e32 v2, s0, v0
	v_lshlrev_b32_e32 v3, 2, v2
	v_cmp_gt_u32_e64 s[0:1], s16, v3
	v_lshlrev_b32_e32 v10, 4, v2
	v_mov_b32_e32 v2, 0
	v_mov_b32_e32 v3, 0
	;; [unrolled: 1-line block ×3, first 2 shown]
	s_and_saveexec_b64 s[8:9], s[0:1]
	s_cbranch_execz .LBB4_4
; %bb.3:
	global_load_dwordx4 v[1:4], v10, s[2:3]
.LBB4_4:
	s_or_b64 exec, exec, s[8:9]
	s_waitcnt vmcnt(0)
	v_add_f32_e32 v11, v5, v6
	v_sub_f32_e32 v5, v5, v6
	v_add_f32_e32 v6, v1, v2
	v_sub_f32_e32 v1, v1, v2
	;; [unrolled: 2-line block ×8, first 2 shown]
	v_mbcnt_lo_u32_b32 v3, -1, 0
	v_mbcnt_hi_u32_b32 v3, -1, v3
	v_and_b32_e32 v12, 64, v3
	v_add_u32_e32 v12, 64, v12
	v_xor_b32_e32 v13, 1, v3
	v_cmp_lt_i32_e64 s[2:3], v13, v12
	v_cndmask_b32_e64 v13, v3, v13, s[2:3]
	v_lshlrev_b32_e32 v13, 2, v13
	ds_bpermute_b32 v14, v13, v4
	v_and_b32_e32 v15, 1, v0
	v_cmp_eq_u32_e64 s[2:3], 0, v15
	v_cndmask_b32_e64 v4, -v4, v4, s[2:3]
	ds_bpermute_b32 v15, v13, v5
	s_waitcnt lgkmcnt(1)
	v_add_f32_e32 v4, v4, v14
	ds_bpermute_b32 v14, v13, v2
	v_cndmask_b32_e64 v2, -v2, v2, s[2:3]
	v_cndmask_b32_e64 v5, -v5, v5, s[2:3]
	ds_bpermute_b32 v16, v13, v8
	s_waitcnt lgkmcnt(2)
	v_add_f32_e32 v5, v5, v15
	s_waitcnt lgkmcnt(1)
	v_add_f32_e32 v2, v2, v14
	ds_bpermute_b32 v14, v13, v11
	v_cndmask_b32_e64 v11, -v11, v11, s[2:3]
	ds_bpermute_b32 v15, v13, v7
	v_cndmask_b32_e64 v8, -v8, v8, s[2:3]
	v_cndmask_b32_e64 v7, -v7, v7, s[2:3]
	s_waitcnt lgkmcnt(1)
	v_add_f32_e32 v11, v11, v14
	ds_bpermute_b32 v14, v13, v6
	ds_bpermute_b32 v13, v13, v1
	v_cndmask_b32_e64 v1, -v1, v1, s[2:3]
	v_cndmask_b32_e64 v6, -v6, v6, s[2:3]
	s_waitcnt lgkmcnt(2)
	v_add_f32_e32 v7, v7, v15
	s_waitcnt lgkmcnt(1)
	v_add_f32_e32 v6, v6, v14
	;; [unrolled: 2-line block ×3, first 2 shown]
	v_xor_b32_e32 v13, 2, v3
	v_cmp_lt_i32_e64 s[2:3], v13, v12
	v_cndmask_b32_e64 v13, v3, v13, s[2:3]
	v_lshlrev_b32_e32 v13, 2, v13
	ds_bpermute_b32 v14, v13, v4
	v_and_b32_e32 v15, 2, v0
	v_cmp_eq_u32_e64 s[2:3], 0, v15
	v_cndmask_b32_e64 v4, -v4, v4, s[2:3]
	ds_bpermute_b32 v15, v13, v5
	s_waitcnt lgkmcnt(1)
	v_add_f32_e32 v4, v4, v14
	ds_bpermute_b32 v14, v13, v2
	v_cndmask_b32_e64 v2, -v2, v2, s[2:3]
	v_add_f32_e32 v8, v8, v16
	v_cndmask_b32_e64 v5, -v5, v5, s[2:3]
	ds_bpermute_b32 v16, v13, v8
	s_waitcnt lgkmcnt(1)
	v_add_f32_e32 v2, v2, v14
	ds_bpermute_b32 v14, v13, v11
	v_cndmask_b32_e64 v11, -v11, v11, s[2:3]
	v_add_f32_e32 v5, v5, v15
	ds_bpermute_b32 v15, v13, v7
	v_cndmask_b32_e64 v8, -v8, v8, s[2:3]
	s_waitcnt lgkmcnt(1)
	v_add_f32_e32 v11, v11, v14
	ds_bpermute_b32 v14, v13, v6
	ds_bpermute_b32 v13, v13, v1
	v_cndmask_b32_e64 v1, -v1, v1, s[2:3]
	v_cndmask_b32_e64 v7, -v7, v7, s[2:3]
	;; [unrolled: 1-line block ×3, first 2 shown]
	s_waitcnt lgkmcnt(1)
	v_add_f32_e32 v6, v6, v14
	s_waitcnt lgkmcnt(0)
	v_add_f32_e32 v1, v1, v13
	v_xor_b32_e32 v13, 4, v3
	v_cmp_lt_i32_e64 s[2:3], v13, v12
	v_cndmask_b32_e64 v13, v3, v13, s[2:3]
	v_lshlrev_b32_e32 v13, 2, v13
	ds_bpermute_b32 v14, v13, v4
	v_add_f32_e32 v7, v7, v15
	v_and_b32_e32 v15, 4, v0
	v_cmp_eq_u32_e64 s[2:3], 0, v15
	v_cndmask_b32_e64 v4, -v4, v4, s[2:3]
	s_waitcnt lgkmcnt(0)
	v_add_f32_e32 v4, v4, v14
	ds_bpermute_b32 v14, v13, v2
	v_cndmask_b32_e64 v2, -v2, v2, s[2:3]
	ds_bpermute_b32 v15, v13, v5
	v_add_f32_e32 v8, v8, v16
	v_cndmask_b32_e64 v5, -v5, v5, s[2:3]
	s_waitcnt lgkmcnt(1)
	v_add_f32_e32 v2, v2, v14
	ds_bpermute_b32 v14, v13, v11
	v_cndmask_b32_e64 v11, -v11, v11, s[2:3]
	ds_bpermute_b32 v16, v13, v8
	s_waitcnt lgkmcnt(2)
	v_add_f32_e32 v5, v5, v15
	ds_bpermute_b32 v15, v13, v7
	s_waitcnt lgkmcnt(2)
	v_add_f32_e32 v11, v11, v14
	ds_bpermute_b32 v14, v13, v6
	ds_bpermute_b32 v13, v13, v1
	v_cndmask_b32_e64 v1, -v1, v1, s[2:3]
	v_cndmask_b32_e64 v8, -v8, v8, s[2:3]
	;; [unrolled: 1-line block ×4, first 2 shown]
	s_waitcnt lgkmcnt(0)
	v_add_f32_e32 v13, v1, v13
	v_xor_b32_e32 v1, 8, v3
	v_cmp_lt_i32_e64 s[2:3], v1, v12
	v_cndmask_b32_e64 v1, v3, v1, s[2:3]
	v_lshlrev_b32_e32 v12, 2, v1
	v_add_f32_e32 v8, v8, v16
	ds_bpermute_b32 v1, v12, v4
	v_and_b32_e32 v0, 8, v0
	ds_bpermute_b32 v3, v12, v8
	v_cmp_eq_u32_e64 s[2:3], 0, v0
	v_cndmask_b32_e64 v0, -v4, v4, s[2:3]
	ds_bpermute_b32 v4, v12, v2
	s_waitcnt lgkmcnt(2)
	v_add_f32_e32 v0, v0, v1
	v_cndmask_b32_e64 v1, -v8, v8, s[2:3]
	s_waitcnt lgkmcnt(1)
	v_add_f32_e32 v1, v1, v3
	ds_bpermute_b32 v3, v12, v5
	v_cndmask_b32_e64 v2, -v2, v2, s[2:3]
	v_add_f32_e32 v7, v7, v15
	s_waitcnt lgkmcnt(1)
	v_add_f32_e32 v2, v2, v4
	ds_bpermute_b32 v4, v12, v11
	ds_bpermute_b32 v8, v12, v7
	v_cndmask_b32_e64 v5, -v5, v5, s[2:3]
	s_waitcnt lgkmcnt(2)
	v_add_f32_e32 v3, v5, v3
	v_cndmask_b32_e64 v5, -v11, v11, s[2:3]
	v_add_f32_e32 v6, v6, v14
	s_waitcnt lgkmcnt(1)
	v_add_f32_e32 v4, v5, v4
	v_cndmask_b32_e64 v5, -v7, v7, s[2:3]
	ds_bpermute_b32 v11, v12, v6
	ds_bpermute_b32 v7, v12, v13
	s_waitcnt lgkmcnt(2)
	v_add_f32_e32 v5, v5, v8
	v_cndmask_b32_e64 v6, -v6, v6, s[2:3]
	v_cndmask_b32_e64 v8, -v13, v13, s[2:3]
	s_mul_i32 s2, s14, s7
	s_mul_hi_u32 s3, s14, s6
	s_load_dword s8, s[4:5], 0x20
	s_add_i32 s2, s3, s2
	s_mul_i32 s3, s15, s6
	s_add_i32 s3, s2, s3
	s_mul_i32 s2, s14, s6
	s_lshl_b64 s[2:3], s[2:3], 2
	s_add_u32 s2, s10, s2
	s_waitcnt lgkmcnt(0)
	v_add_f32_e32 v6, v6, v11
	v_add_f32_e32 v7, v8, v7
	s_addc_u32 s3, s11, s3
	s_and_saveexec_b64 s[4:5], vcc
	s_cbranch_execnz .LBB4_7
; %bb.5:
	s_or_b64 exec, exec, s[4:5]
	s_and_saveexec_b64 s[4:5], s[0:1]
	s_cbranch_execnz .LBB4_8
.LBB4_6:
	s_endpgm
.LBB4_7:
	v_add_f32_e32 v8, v3, v7
	v_add_f32_e32 v11, v2, v6
	;; [unrolled: 1-line block ×4, first 2 shown]
	v_mul_f32_e32 v14, s8, v8
	v_mul_f32_e32 v13, s8, v11
	;; [unrolled: 1-line block ×4, first 2 shown]
	global_store_dwordx4 v9, v[11:14], s[2:3]
	s_or_b64 exec, exec, s[4:5]
	s_and_saveexec_b64 s[4:5], s[0:1]
	s_cbranch_execz .LBB4_6
.LBB4_8:
	v_sub_f32_e32 v0, v0, v4
	v_sub_f32_e32 v1, v1, v5
	;; [unrolled: 1-line block ×4, first 2 shown]
	v_mul_f32_e32 v0, s8, v0
	v_mul_f32_e32 v1, s8, v1
	;; [unrolled: 1-line block ×4, first 2 shown]
	global_store_dwordx4 v10, v[0:3], s[2:3]
	s_endpgm
	.section	.rodata,"a",@progbits
	.p2align	6, 0x0
	.amdhsa_kernel _Z30fast_hadamard_transform_kernelI37fast_hadamard_transform_kernel_traitsILi16ELi7EfEEv18HadamardParamsBase
		.amdhsa_group_segment_fixed_size 0
		.amdhsa_private_segment_fixed_size 0
		.amdhsa_kernarg_size 312
		.amdhsa_user_sgpr_count 6
		.amdhsa_user_sgpr_private_segment_buffer 1
		.amdhsa_user_sgpr_dispatch_ptr 0
		.amdhsa_user_sgpr_queue_ptr 0
		.amdhsa_user_sgpr_kernarg_segment_ptr 1
		.amdhsa_user_sgpr_dispatch_id 0
		.amdhsa_user_sgpr_flat_scratch_init 0
		.amdhsa_user_sgpr_private_segment_size 0
		.amdhsa_uses_dynamic_stack 0
		.amdhsa_system_sgpr_private_segment_wavefront_offset 0
		.amdhsa_system_sgpr_workgroup_id_x 1
		.amdhsa_system_sgpr_workgroup_id_y 0
		.amdhsa_system_sgpr_workgroup_id_z 0
		.amdhsa_system_sgpr_workgroup_info 0
		.amdhsa_system_vgpr_workitem_id 0
		.amdhsa_next_free_vgpr 17
		.amdhsa_next_free_sgpr 17
		.amdhsa_reserve_vcc 1
		.amdhsa_reserve_flat_scratch 0
		.amdhsa_float_round_mode_32 0
		.amdhsa_float_round_mode_16_64 0
		.amdhsa_float_denorm_mode_32 3
		.amdhsa_float_denorm_mode_16_64 3
		.amdhsa_dx10_clamp 1
		.amdhsa_ieee_mode 1
		.amdhsa_fp16_overflow 0
		.amdhsa_exception_fp_ieee_invalid_op 0
		.amdhsa_exception_fp_denorm_src 0
		.amdhsa_exception_fp_ieee_div_zero 0
		.amdhsa_exception_fp_ieee_overflow 0
		.amdhsa_exception_fp_ieee_underflow 0
		.amdhsa_exception_fp_ieee_inexact 0
		.amdhsa_exception_int_div_zero 0
	.end_amdhsa_kernel
	.section	.text._Z30fast_hadamard_transform_kernelI37fast_hadamard_transform_kernel_traitsILi16ELi7EfEEv18HadamardParamsBase,"axG",@progbits,_Z30fast_hadamard_transform_kernelI37fast_hadamard_transform_kernel_traitsILi16ELi7EfEEv18HadamardParamsBase,comdat
.Lfunc_end4:
	.size	_Z30fast_hadamard_transform_kernelI37fast_hadamard_transform_kernel_traitsILi16ELi7EfEEv18HadamardParamsBase, .Lfunc_end4-_Z30fast_hadamard_transform_kernelI37fast_hadamard_transform_kernel_traitsILi16ELi7EfEEv18HadamardParamsBase
                                        ; -- End function
	.set _Z30fast_hadamard_transform_kernelI37fast_hadamard_transform_kernel_traitsILi16ELi7EfEEv18HadamardParamsBase.num_vgpr, 17
	.set _Z30fast_hadamard_transform_kernelI37fast_hadamard_transform_kernel_traitsILi16ELi7EfEEv18HadamardParamsBase.num_agpr, 0
	.set _Z30fast_hadamard_transform_kernelI37fast_hadamard_transform_kernel_traitsILi16ELi7EfEEv18HadamardParamsBase.numbered_sgpr, 17
	.set _Z30fast_hadamard_transform_kernelI37fast_hadamard_transform_kernel_traitsILi16ELi7EfEEv18HadamardParamsBase.num_named_barrier, 0
	.set _Z30fast_hadamard_transform_kernelI37fast_hadamard_transform_kernel_traitsILi16ELi7EfEEv18HadamardParamsBase.private_seg_size, 0
	.set _Z30fast_hadamard_transform_kernelI37fast_hadamard_transform_kernel_traitsILi16ELi7EfEEv18HadamardParamsBase.uses_vcc, 1
	.set _Z30fast_hadamard_transform_kernelI37fast_hadamard_transform_kernel_traitsILi16ELi7EfEEv18HadamardParamsBase.uses_flat_scratch, 0
	.set _Z30fast_hadamard_transform_kernelI37fast_hadamard_transform_kernel_traitsILi16ELi7EfEEv18HadamardParamsBase.has_dyn_sized_stack, 0
	.set _Z30fast_hadamard_transform_kernelI37fast_hadamard_transform_kernel_traitsILi16ELi7EfEEv18HadamardParamsBase.has_recursion, 0
	.set _Z30fast_hadamard_transform_kernelI37fast_hadamard_transform_kernel_traitsILi16ELi7EfEEv18HadamardParamsBase.has_indirect_call, 0
	.section	.AMDGPU.csdata,"",@progbits
; Kernel info:
; codeLenInByte = 1328
; TotalNumSgprs: 21
; NumVgprs: 17
; ScratchSize: 0
; MemoryBound: 0
; FloatMode: 240
; IeeeMode: 1
; LDSByteSize: 0 bytes/workgroup (compile time only)
; SGPRBlocks: 2
; VGPRBlocks: 4
; NumSGPRsForWavesPerEU: 21
; NumVGPRsForWavesPerEU: 17
; Occupancy: 10
; WaveLimiterHint : 0
; COMPUTE_PGM_RSRC2:SCRATCH_EN: 0
; COMPUTE_PGM_RSRC2:USER_SGPR: 6
; COMPUTE_PGM_RSRC2:TRAP_HANDLER: 0
; COMPUTE_PGM_RSRC2:TGID_X_EN: 1
; COMPUTE_PGM_RSRC2:TGID_Y_EN: 0
; COMPUTE_PGM_RSRC2:TGID_Z_EN: 0
; COMPUTE_PGM_RSRC2:TIDIG_COMP_CNT: 0
	.section	.text._Z30fast_hadamard_transform_kernelI37fast_hadamard_transform_kernel_traitsILi32ELi8EfEEv18HadamardParamsBase,"axG",@progbits,_Z30fast_hadamard_transform_kernelI37fast_hadamard_transform_kernel_traitsILi32ELi8EfEEv18HadamardParamsBase,comdat
	.protected	_Z30fast_hadamard_transform_kernelI37fast_hadamard_transform_kernel_traitsILi32ELi8EfEEv18HadamardParamsBase ; -- Begin function _Z30fast_hadamard_transform_kernelI37fast_hadamard_transform_kernel_traitsILi32ELi8EfEEv18HadamardParamsBase
	.globl	_Z30fast_hadamard_transform_kernelI37fast_hadamard_transform_kernel_traitsILi32ELi8EfEEv18HadamardParamsBase
	.p2align	8
	.type	_Z30fast_hadamard_transform_kernelI37fast_hadamard_transform_kernel_traitsILi32ELi8EfEEv18HadamardParamsBase,@function
_Z30fast_hadamard_transform_kernelI37fast_hadamard_transform_kernel_traitsILi32ELi8EfEEv18HadamardParamsBase: ; @_Z30fast_hadamard_transform_kernelI37fast_hadamard_transform_kernel_traitsILi32ELi8EfEEv18HadamardParamsBase
; %bb.0:
	s_load_dwordx4 s[12:15], s[4:5], 0x10
	s_load_dword s16, s[4:5], 0x4
	s_load_dwordx4 s[8:11], s[4:5], 0x28
	s_ashr_i32 s7, s6, 31
	v_lshlrev_b32_e32 v1, 2, v0
	s_waitcnt lgkmcnt(0)
	s_mul_hi_u32 s0, s12, s6
	s_mul_i32 s1, s12, s7
	s_add_i32 s0, s0, s1
	s_mul_i32 s1, s13, s6
	s_add_i32 s1, s0, s1
	s_mul_i32 s0, s12, s6
	s_load_dword s12, s[4:5], 0x44
	s_lshl_b64 s[0:1], s[0:1], 2
	s_add_u32 s2, s8, s0
	s_addc_u32 s3, s9, s1
	v_cmp_gt_u32_e32 vcc, s16, v1
	v_mov_b32_e32 v1, 0
	v_lshlrev_b32_e32 v9, 4, v0
	v_mov_b32_e32 v5, 0
	v_mov_b32_e32 v6, 0
	;; [unrolled: 1-line block ×4, first 2 shown]
	s_and_saveexec_b64 s[0:1], vcc
	s_cbranch_execz .LBB5_2
; %bb.1:
	global_load_dwordx4 v[5:8], v9, s[2:3]
.LBB5_2:
	s_or_b64 exec, exec, s[0:1]
	s_waitcnt lgkmcnt(0)
	s_and_b32 s0, 0xffff, s12
	v_add_u32_e32 v2, s0, v0
	v_lshlrev_b32_e32 v3, 2, v2
	v_cmp_gt_u32_e64 s[0:1], s16, v3
	v_lshlrev_b32_e32 v10, 4, v2
	v_mov_b32_e32 v2, 0
	v_mov_b32_e32 v3, 0
	;; [unrolled: 1-line block ×3, first 2 shown]
	s_and_saveexec_b64 s[8:9], s[0:1]
	s_cbranch_execz .LBB5_4
; %bb.3:
	global_load_dwordx4 v[1:4], v10, s[2:3]
.LBB5_4:
	s_or_b64 exec, exec, s[8:9]
	s_waitcnt vmcnt(0)
	v_add_f32_e32 v11, v5, v6
	v_sub_f32_e32 v5, v5, v6
	v_add_f32_e32 v6, v1, v2
	v_sub_f32_e32 v1, v1, v2
	;; [unrolled: 2-line block ×8, first 2 shown]
	v_mbcnt_lo_u32_b32 v3, -1, 0
	v_mbcnt_hi_u32_b32 v3, -1, v3
	v_and_b32_e32 v12, 64, v3
	v_add_u32_e32 v12, 64, v12
	v_xor_b32_e32 v13, 1, v3
	v_cmp_lt_i32_e64 s[2:3], v13, v12
	v_cndmask_b32_e64 v13, v3, v13, s[2:3]
	v_lshlrev_b32_e32 v13, 2, v13
	ds_bpermute_b32 v14, v13, v4
	v_and_b32_e32 v15, 1, v0
	v_cmp_eq_u32_e64 s[2:3], 0, v15
	v_cndmask_b32_e64 v4, -v4, v4, s[2:3]
	ds_bpermute_b32 v15, v13, v5
	s_waitcnt lgkmcnt(1)
	v_add_f32_e32 v4, v4, v14
	ds_bpermute_b32 v14, v13, v2
	v_cndmask_b32_e64 v2, -v2, v2, s[2:3]
	v_cndmask_b32_e64 v5, -v5, v5, s[2:3]
	ds_bpermute_b32 v16, v13, v8
	s_waitcnt lgkmcnt(2)
	v_add_f32_e32 v5, v5, v15
	s_waitcnt lgkmcnt(1)
	v_add_f32_e32 v2, v2, v14
	ds_bpermute_b32 v14, v13, v11
	v_cndmask_b32_e64 v11, -v11, v11, s[2:3]
	ds_bpermute_b32 v15, v13, v7
	v_cndmask_b32_e64 v8, -v8, v8, s[2:3]
	v_cndmask_b32_e64 v7, -v7, v7, s[2:3]
	s_waitcnt lgkmcnt(1)
	v_add_f32_e32 v11, v11, v14
	ds_bpermute_b32 v14, v13, v6
	ds_bpermute_b32 v13, v13, v1
	v_cndmask_b32_e64 v1, -v1, v1, s[2:3]
	v_cndmask_b32_e64 v6, -v6, v6, s[2:3]
	s_waitcnt lgkmcnt(2)
	v_add_f32_e32 v7, v7, v15
	s_waitcnt lgkmcnt(1)
	v_add_f32_e32 v6, v6, v14
	;; [unrolled: 2-line block ×3, first 2 shown]
	v_xor_b32_e32 v13, 2, v3
	v_cmp_lt_i32_e64 s[2:3], v13, v12
	v_cndmask_b32_e64 v13, v3, v13, s[2:3]
	v_lshlrev_b32_e32 v13, 2, v13
	ds_bpermute_b32 v14, v13, v4
	v_and_b32_e32 v15, 2, v0
	v_cmp_eq_u32_e64 s[2:3], 0, v15
	v_cndmask_b32_e64 v4, -v4, v4, s[2:3]
	ds_bpermute_b32 v15, v13, v5
	s_waitcnt lgkmcnt(1)
	v_add_f32_e32 v4, v4, v14
	ds_bpermute_b32 v14, v13, v2
	v_cndmask_b32_e64 v2, -v2, v2, s[2:3]
	v_add_f32_e32 v8, v8, v16
	v_cndmask_b32_e64 v5, -v5, v5, s[2:3]
	ds_bpermute_b32 v16, v13, v8
	s_waitcnt lgkmcnt(1)
	v_add_f32_e32 v2, v2, v14
	ds_bpermute_b32 v14, v13, v11
	v_cndmask_b32_e64 v11, -v11, v11, s[2:3]
	v_add_f32_e32 v5, v5, v15
	ds_bpermute_b32 v15, v13, v7
	v_cndmask_b32_e64 v8, -v8, v8, s[2:3]
	s_waitcnt lgkmcnt(1)
	v_add_f32_e32 v11, v11, v14
	ds_bpermute_b32 v14, v13, v6
	ds_bpermute_b32 v13, v13, v1
	v_cndmask_b32_e64 v1, -v1, v1, s[2:3]
	v_cndmask_b32_e64 v7, -v7, v7, s[2:3]
	v_cndmask_b32_e64 v6, -v6, v6, s[2:3]
	s_waitcnt lgkmcnt(1)
	v_add_f32_e32 v6, v6, v14
	s_waitcnt lgkmcnt(0)
	v_add_f32_e32 v1, v1, v13
	v_xor_b32_e32 v13, 4, v3
	v_cmp_lt_i32_e64 s[2:3], v13, v12
	v_cndmask_b32_e64 v13, v3, v13, s[2:3]
	v_lshlrev_b32_e32 v13, 2, v13
	ds_bpermute_b32 v14, v13, v4
	v_add_f32_e32 v7, v7, v15
	v_and_b32_e32 v15, 4, v0
	v_cmp_eq_u32_e64 s[2:3], 0, v15
	v_cndmask_b32_e64 v4, -v4, v4, s[2:3]
	s_waitcnt lgkmcnt(0)
	v_add_f32_e32 v4, v4, v14
	ds_bpermute_b32 v14, v13, v2
	v_cndmask_b32_e64 v2, -v2, v2, s[2:3]
	ds_bpermute_b32 v15, v13, v5
	v_add_f32_e32 v8, v8, v16
	v_cndmask_b32_e64 v5, -v5, v5, s[2:3]
	s_waitcnt lgkmcnt(1)
	v_add_f32_e32 v2, v2, v14
	ds_bpermute_b32 v14, v13, v11
	v_cndmask_b32_e64 v11, -v11, v11, s[2:3]
	ds_bpermute_b32 v16, v13, v8
	s_waitcnt lgkmcnt(2)
	v_add_f32_e32 v5, v5, v15
	ds_bpermute_b32 v15, v13, v7
	s_waitcnt lgkmcnt(2)
	v_add_f32_e32 v11, v11, v14
	ds_bpermute_b32 v14, v13, v6
	ds_bpermute_b32 v13, v13, v1
	v_cndmask_b32_e64 v1, -v1, v1, s[2:3]
	v_cndmask_b32_e64 v8, -v8, v8, s[2:3]
	;; [unrolled: 1-line block ×4, first 2 shown]
	s_waitcnt lgkmcnt(0)
	v_add_f32_e32 v1, v1, v13
	v_xor_b32_e32 v13, 8, v3
	v_cmp_lt_i32_e64 s[2:3], v13, v12
	v_cndmask_b32_e64 v13, v3, v13, s[2:3]
	v_lshlrev_b32_e32 v13, 2, v13
	v_add_f32_e32 v6, v6, v14
	ds_bpermute_b32 v14, v13, v4
	v_add_f32_e32 v7, v7, v15
	v_and_b32_e32 v15, 8, v0
	v_cmp_eq_u32_e64 s[2:3], 0, v15
	v_cndmask_b32_e64 v4, -v4, v4, s[2:3]
	s_waitcnt lgkmcnt(0)
	v_add_f32_e32 v4, v4, v14
	ds_bpermute_b32 v14, v13, v2
	v_cndmask_b32_e64 v2, -v2, v2, s[2:3]
	ds_bpermute_b32 v15, v13, v5
	v_add_f32_e32 v8, v8, v16
	v_cndmask_b32_e64 v5, -v5, v5, s[2:3]
	s_waitcnt lgkmcnt(1)
	v_add_f32_e32 v2, v2, v14
	ds_bpermute_b32 v14, v13, v11
	v_cndmask_b32_e64 v11, -v11, v11, s[2:3]
	ds_bpermute_b32 v16, v13, v8
	s_waitcnt lgkmcnt(2)
	v_add_f32_e32 v5, v5, v15
	ds_bpermute_b32 v15, v13, v7
	s_waitcnt lgkmcnt(2)
	v_add_f32_e32 v11, v11, v14
	ds_bpermute_b32 v14, v13, v6
	ds_bpermute_b32 v13, v13, v1
	v_cndmask_b32_e64 v1, -v1, v1, s[2:3]
	v_cndmask_b32_e64 v8, -v8, v8, s[2:3]
	;; [unrolled: 1-line block ×4, first 2 shown]
	s_waitcnt lgkmcnt(0)
	v_add_f32_e32 v13, v1, v13
	v_xor_b32_e32 v1, 16, v3
	v_cmp_lt_i32_e64 s[2:3], v1, v12
	v_cndmask_b32_e64 v1, v3, v1, s[2:3]
	v_lshlrev_b32_e32 v12, 2, v1
	v_add_f32_e32 v8, v8, v16
	ds_bpermute_b32 v1, v12, v4
	v_and_b32_e32 v0, 16, v0
	ds_bpermute_b32 v3, v12, v8
	v_cmp_eq_u32_e64 s[2:3], 0, v0
	v_cndmask_b32_e64 v0, -v4, v4, s[2:3]
	ds_bpermute_b32 v4, v12, v2
	s_waitcnt lgkmcnt(2)
	v_add_f32_e32 v0, v0, v1
	v_cndmask_b32_e64 v1, -v8, v8, s[2:3]
	s_waitcnt lgkmcnt(1)
	v_add_f32_e32 v1, v1, v3
	ds_bpermute_b32 v3, v12, v5
	v_cndmask_b32_e64 v2, -v2, v2, s[2:3]
	v_add_f32_e32 v7, v7, v15
	s_waitcnt lgkmcnt(1)
	v_add_f32_e32 v2, v2, v4
	ds_bpermute_b32 v4, v12, v11
	ds_bpermute_b32 v8, v12, v7
	v_cndmask_b32_e64 v5, -v5, v5, s[2:3]
	s_waitcnt lgkmcnt(2)
	v_add_f32_e32 v3, v5, v3
	v_cndmask_b32_e64 v5, -v11, v11, s[2:3]
	v_add_f32_e32 v6, v6, v14
	s_waitcnt lgkmcnt(1)
	v_add_f32_e32 v4, v5, v4
	v_cndmask_b32_e64 v5, -v7, v7, s[2:3]
	ds_bpermute_b32 v11, v12, v6
	ds_bpermute_b32 v7, v12, v13
	s_waitcnt lgkmcnt(2)
	v_add_f32_e32 v5, v5, v8
	v_cndmask_b32_e64 v6, -v6, v6, s[2:3]
	v_cndmask_b32_e64 v8, -v13, v13, s[2:3]
	s_mul_i32 s2, s14, s7
	s_mul_hi_u32 s3, s14, s6
	s_load_dword s8, s[4:5], 0x20
	s_add_i32 s2, s3, s2
	s_mul_i32 s3, s15, s6
	s_add_i32 s3, s2, s3
	s_mul_i32 s2, s14, s6
	s_lshl_b64 s[2:3], s[2:3], 2
	s_add_u32 s2, s10, s2
	s_waitcnt lgkmcnt(0)
	v_add_f32_e32 v6, v6, v11
	v_add_f32_e32 v7, v8, v7
	s_addc_u32 s3, s11, s3
	s_and_saveexec_b64 s[4:5], vcc
	s_cbranch_execnz .LBB5_7
; %bb.5:
	s_or_b64 exec, exec, s[4:5]
	s_and_saveexec_b64 s[4:5], s[0:1]
	s_cbranch_execnz .LBB5_8
.LBB5_6:
	s_endpgm
.LBB5_7:
	v_add_f32_e32 v8, v3, v7
	v_add_f32_e32 v11, v2, v6
	;; [unrolled: 1-line block ×4, first 2 shown]
	v_mul_f32_e32 v14, s8, v8
	v_mul_f32_e32 v13, s8, v11
	;; [unrolled: 1-line block ×4, first 2 shown]
	global_store_dwordx4 v9, v[11:14], s[2:3]
	s_or_b64 exec, exec, s[4:5]
	s_and_saveexec_b64 s[4:5], s[0:1]
	s_cbranch_execz .LBB5_6
.LBB5_8:
	v_sub_f32_e32 v0, v0, v4
	v_sub_f32_e32 v1, v1, v5
	;; [unrolled: 1-line block ×4, first 2 shown]
	v_mul_f32_e32 v0, s8, v0
	v_mul_f32_e32 v1, s8, v1
	;; [unrolled: 1-line block ×4, first 2 shown]
	global_store_dwordx4 v10, v[0:3], s[2:3]
	s_endpgm
	.section	.rodata,"a",@progbits
	.p2align	6, 0x0
	.amdhsa_kernel _Z30fast_hadamard_transform_kernelI37fast_hadamard_transform_kernel_traitsILi32ELi8EfEEv18HadamardParamsBase
		.amdhsa_group_segment_fixed_size 0
		.amdhsa_private_segment_fixed_size 0
		.amdhsa_kernarg_size 312
		.amdhsa_user_sgpr_count 6
		.amdhsa_user_sgpr_private_segment_buffer 1
		.amdhsa_user_sgpr_dispatch_ptr 0
		.amdhsa_user_sgpr_queue_ptr 0
		.amdhsa_user_sgpr_kernarg_segment_ptr 1
		.amdhsa_user_sgpr_dispatch_id 0
		.amdhsa_user_sgpr_flat_scratch_init 0
		.amdhsa_user_sgpr_private_segment_size 0
		.amdhsa_uses_dynamic_stack 0
		.amdhsa_system_sgpr_private_segment_wavefront_offset 0
		.amdhsa_system_sgpr_workgroup_id_x 1
		.amdhsa_system_sgpr_workgroup_id_y 0
		.amdhsa_system_sgpr_workgroup_id_z 0
		.amdhsa_system_sgpr_workgroup_info 0
		.amdhsa_system_vgpr_workitem_id 0
		.amdhsa_next_free_vgpr 17
		.amdhsa_next_free_sgpr 17
		.amdhsa_reserve_vcc 1
		.amdhsa_reserve_flat_scratch 0
		.amdhsa_float_round_mode_32 0
		.amdhsa_float_round_mode_16_64 0
		.amdhsa_float_denorm_mode_32 3
		.amdhsa_float_denorm_mode_16_64 3
		.amdhsa_dx10_clamp 1
		.amdhsa_ieee_mode 1
		.amdhsa_fp16_overflow 0
		.amdhsa_exception_fp_ieee_invalid_op 0
		.amdhsa_exception_fp_denorm_src 0
		.amdhsa_exception_fp_ieee_div_zero 0
		.amdhsa_exception_fp_ieee_overflow 0
		.amdhsa_exception_fp_ieee_underflow 0
		.amdhsa_exception_fp_ieee_inexact 0
		.amdhsa_exception_int_div_zero 0
	.end_amdhsa_kernel
	.section	.text._Z30fast_hadamard_transform_kernelI37fast_hadamard_transform_kernel_traitsILi32ELi8EfEEv18HadamardParamsBase,"axG",@progbits,_Z30fast_hadamard_transform_kernelI37fast_hadamard_transform_kernel_traitsILi32ELi8EfEEv18HadamardParamsBase,comdat
.Lfunc_end5:
	.size	_Z30fast_hadamard_transform_kernelI37fast_hadamard_transform_kernel_traitsILi32ELi8EfEEv18HadamardParamsBase, .Lfunc_end5-_Z30fast_hadamard_transform_kernelI37fast_hadamard_transform_kernel_traitsILi32ELi8EfEEv18HadamardParamsBase
                                        ; -- End function
	.set _Z30fast_hadamard_transform_kernelI37fast_hadamard_transform_kernel_traitsILi32ELi8EfEEv18HadamardParamsBase.num_vgpr, 17
	.set _Z30fast_hadamard_transform_kernelI37fast_hadamard_transform_kernel_traitsILi32ELi8EfEEv18HadamardParamsBase.num_agpr, 0
	.set _Z30fast_hadamard_transform_kernelI37fast_hadamard_transform_kernel_traitsILi32ELi8EfEEv18HadamardParamsBase.numbered_sgpr, 17
	.set _Z30fast_hadamard_transform_kernelI37fast_hadamard_transform_kernel_traitsILi32ELi8EfEEv18HadamardParamsBase.num_named_barrier, 0
	.set _Z30fast_hadamard_transform_kernelI37fast_hadamard_transform_kernel_traitsILi32ELi8EfEEv18HadamardParamsBase.private_seg_size, 0
	.set _Z30fast_hadamard_transform_kernelI37fast_hadamard_transform_kernel_traitsILi32ELi8EfEEv18HadamardParamsBase.uses_vcc, 1
	.set _Z30fast_hadamard_transform_kernelI37fast_hadamard_transform_kernel_traitsILi32ELi8EfEEv18HadamardParamsBase.uses_flat_scratch, 0
	.set _Z30fast_hadamard_transform_kernelI37fast_hadamard_transform_kernel_traitsILi32ELi8EfEEv18HadamardParamsBase.has_dyn_sized_stack, 0
	.set _Z30fast_hadamard_transform_kernelI37fast_hadamard_transform_kernel_traitsILi32ELi8EfEEv18HadamardParamsBase.has_recursion, 0
	.set _Z30fast_hadamard_transform_kernelI37fast_hadamard_transform_kernel_traitsILi32ELi8EfEEv18HadamardParamsBase.has_indirect_call, 0
	.section	.AMDGPU.csdata,"",@progbits
; Kernel info:
; codeLenInByte = 1544
; TotalNumSgprs: 21
; NumVgprs: 17
; ScratchSize: 0
; MemoryBound: 0
; FloatMode: 240
; IeeeMode: 1
; LDSByteSize: 0 bytes/workgroup (compile time only)
; SGPRBlocks: 2
; VGPRBlocks: 4
; NumSGPRsForWavesPerEU: 21
; NumVGPRsForWavesPerEU: 17
; Occupancy: 10
; WaveLimiterHint : 0
; COMPUTE_PGM_RSRC2:SCRATCH_EN: 0
; COMPUTE_PGM_RSRC2:USER_SGPR: 6
; COMPUTE_PGM_RSRC2:TRAP_HANDLER: 0
; COMPUTE_PGM_RSRC2:TGID_X_EN: 1
; COMPUTE_PGM_RSRC2:TGID_Y_EN: 0
; COMPUTE_PGM_RSRC2:TGID_Z_EN: 0
; COMPUTE_PGM_RSRC2:TIDIG_COMP_CNT: 0
	.section	.text._Z30fast_hadamard_transform_kernelI37fast_hadamard_transform_kernel_traitsILi32ELi9EfEEv18HadamardParamsBase,"axG",@progbits,_Z30fast_hadamard_transform_kernelI37fast_hadamard_transform_kernel_traitsILi32ELi9EfEEv18HadamardParamsBase,comdat
	.protected	_Z30fast_hadamard_transform_kernelI37fast_hadamard_transform_kernel_traitsILi32ELi9EfEEv18HadamardParamsBase ; -- Begin function _Z30fast_hadamard_transform_kernelI37fast_hadamard_transform_kernel_traitsILi32ELi9EfEEv18HadamardParamsBase
	.globl	_Z30fast_hadamard_transform_kernelI37fast_hadamard_transform_kernel_traitsILi32ELi9EfEEv18HadamardParamsBase
	.p2align	8
	.type	_Z30fast_hadamard_transform_kernelI37fast_hadamard_transform_kernel_traitsILi32ELi9EfEEv18HadamardParamsBase,@function
_Z30fast_hadamard_transform_kernelI37fast_hadamard_transform_kernel_traitsILi32ELi9EfEEv18HadamardParamsBase: ; @_Z30fast_hadamard_transform_kernelI37fast_hadamard_transform_kernel_traitsILi32ELi9EfEEv18HadamardParamsBase
; %bb.0:
	s_load_dwordx4 s[16:19], s[4:5], 0x10
	s_load_dword s20, s[4:5], 0x4
	s_load_dwordx4 s[12:15], s[4:5], 0x28
	s_ashr_i32 s7, s6, 31
	s_load_dword s2, s[4:5], 0x44
	s_waitcnt lgkmcnt(0)
	s_mul_hi_u32 s0, s16, s6
	s_mul_i32 s1, s16, s7
	s_add_i32 s0, s0, s1
	s_mul_i32 s1, s17, s6
	s_add_i32 s1, s0, s1
	s_mul_i32 s0, s16, s6
	s_lshl_b64 s[0:1], s[0:1], 2
	s_add_u32 s10, s12, s0
	v_lshlrev_b32_e32 v1, 2, v0
	s_addc_u32 s11, s13, s1
	v_cmp_gt_u32_e32 vcc, s20, v1
	v_mov_b32_e32 v1, 0
	v_lshlrev_b32_e32 v17, 4, v0
	v_mov_b32_e32 v5, 0
	v_mov_b32_e32 v6, 0
	;; [unrolled: 1-line block ×4, first 2 shown]
	s_and_saveexec_b64 s[0:1], vcc
	s_cbranch_execz .LBB6_2
; %bb.1:
	global_load_dwordx4 v[5:8], v17, s[10:11]
.LBB6_2:
	s_or_b64 exec, exec, s[0:1]
	s_and_b32 s12, 0xffff, s2
	v_add_u32_e32 v9, s12, v0
	v_lshlrev_b32_e32 v2, 2, v9
	v_cmp_gt_u32_e64 s[0:1], s20, v2
	v_lshlrev_b32_e32 v18, 4, v9
	v_mov_b32_e32 v2, 0
	v_mov_b32_e32 v3, 0
	;; [unrolled: 1-line block ×3, first 2 shown]
	s_and_saveexec_b64 s[2:3], s[0:1]
	s_cbranch_execz .LBB6_4
; %bb.3:
	global_load_dwordx4 v[1:4], v18, s[10:11]
.LBB6_4:
	s_or_b64 exec, exec, s[2:3]
	v_add_u32_e32 v10, s12, v9
	v_lshlrev_b32_e32 v9, 2, v10
	v_cmp_gt_u32_e64 s[2:3], s20, v9
	v_mov_b32_e32 v9, 0
	v_lshlrev_b32_e32 v19, 4, v10
	v_mov_b32_e32 v13, 0
	v_mov_b32_e32 v14, 0
	;; [unrolled: 1-line block ×4, first 2 shown]
	s_and_saveexec_b64 s[8:9], s[2:3]
	s_cbranch_execz .LBB6_6
; %bb.5:
	global_load_dwordx4 v[13:16], v19, s[10:11]
.LBB6_6:
	s_or_b64 exec, exec, s[8:9]
	v_add_u32_e32 v10, s12, v10
	v_lshlrev_b32_e32 v11, 2, v10
	v_cmp_gt_u32_e64 s[8:9], s20, v11
	v_lshlrev_b32_e32 v20, 4, v10
	v_mov_b32_e32 v10, 0
	v_mov_b32_e32 v11, 0
	;; [unrolled: 1-line block ×3, first 2 shown]
	s_and_saveexec_b64 s[12:13], s[8:9]
	s_cbranch_execz .LBB6_8
; %bb.7:
	global_load_dwordx4 v[9:12], v20, s[10:11]
.LBB6_8:
	s_or_b64 exec, exec, s[12:13]
	s_waitcnt vmcnt(0)
	v_add_f32_e32 v21, v5, v6
	v_sub_f32_e32 v5, v5, v6
	v_add_f32_e32 v6, v7, v8
	v_sub_f32_e32 v7, v7, v8
	;; [unrolled: 2-line block ×16, first 2 shown]
	v_mbcnt_lo_u32_b32 v11, -1, 0
	v_mbcnt_hi_u32_b32 v11, -1, v11
	v_and_b32_e32 v22, 64, v11
	v_add_u32_e32 v22, 64, v22
	v_xor_b32_e32 v23, 1, v11
	v_cmp_lt_i32_e64 s[10:11], v23, v22
	v_cndmask_b32_e64 v23, v11, v23, s[10:11]
	v_lshlrev_b32_e32 v23, 2, v23
	ds_bpermute_b32 v24, v23, v12
	v_and_b32_e32 v25, 1, v0
	v_cmp_eq_u32_e64 s[10:11], 0, v25
	v_cndmask_b32_e64 v12, -v12, v12, s[10:11]
	ds_bpermute_b32 v25, v23, v5
	s_waitcnt lgkmcnt(1)
	v_add_f32_e32 v12, v12, v24
	ds_bpermute_b32 v24, v23, v6
	v_cndmask_b32_e64 v6, -v6, v6, s[10:11]
	v_cndmask_b32_e64 v5, -v5, v5, s[10:11]
	s_waitcnt lgkmcnt(1)
	v_add_f32_e32 v5, v5, v25
	ds_bpermute_b32 v25, v23, v7
	s_waitcnt lgkmcnt(1)
	v_add_f32_e32 v6, v6, v24
	ds_bpermute_b32 v24, v23, v21
	v_cndmask_b32_e64 v21, -v21, v21, s[10:11]
	v_cndmask_b32_e64 v7, -v7, v7, s[10:11]
	s_waitcnt lgkmcnt(1)
	v_add_f32_e32 v7, v7, v25
	;; [unrolled: 8-line block ×4, first 2 shown]
	ds_bpermute_b32 v25, v23, v13
	s_waitcnt lgkmcnt(1)
	v_add_f32_e32 v8, v8, v24
	ds_bpermute_b32 v24, v23, v4
	v_cndmask_b32_e64 v4, -v4, v4, s[10:11]
	v_cndmask_b32_e64 v13, -v13, v13, s[10:11]
	ds_bpermute_b32 v26, v23, v16
	s_waitcnt lgkmcnt(2)
	v_add_f32_e32 v13, v13, v25
	s_waitcnt lgkmcnt(1)
	v_add_f32_e32 v4, v4, v24
	ds_bpermute_b32 v24, v23, v14
	v_cndmask_b32_e64 v14, -v14, v14, s[10:11]
	ds_bpermute_b32 v25, v23, v15
	v_cndmask_b32_e64 v16, -v16, v16, s[10:11]
	v_cndmask_b32_e64 v15, -v15, v15, s[10:11]
	s_waitcnt lgkmcnt(1)
	v_add_f32_e32 v14, v14, v24
	ds_bpermute_b32 v24, v23, v10
	ds_bpermute_b32 v23, v23, v9
	v_cndmask_b32_e64 v9, -v9, v9, s[10:11]
	v_cndmask_b32_e64 v10, -v10, v10, s[10:11]
	s_waitcnt lgkmcnt(2)
	v_add_f32_e32 v15, v15, v25
	s_waitcnt lgkmcnt(1)
	v_add_f32_e32 v10, v10, v24
	;; [unrolled: 2-line block ×3, first 2 shown]
	v_xor_b32_e32 v23, 2, v11
	v_cmp_lt_i32_e64 s[10:11], v23, v22
	v_cndmask_b32_e64 v23, v11, v23, s[10:11]
	v_lshlrev_b32_e32 v23, 2, v23
	ds_bpermute_b32 v24, v23, v12
	v_and_b32_e32 v25, 2, v0
	v_cmp_eq_u32_e64 s[10:11], 0, v25
	v_cndmask_b32_e64 v12, -v12, v12, s[10:11]
	ds_bpermute_b32 v25, v23, v5
	s_waitcnt lgkmcnt(1)
	v_add_f32_e32 v12, v12, v24
	ds_bpermute_b32 v24, v23, v6
	v_cndmask_b32_e64 v6, -v6, v6, s[10:11]
	v_cndmask_b32_e64 v5, -v5, v5, s[10:11]
	s_waitcnt lgkmcnt(1)
	v_add_f32_e32 v5, v5, v25
	ds_bpermute_b32 v25, v23, v7
	s_waitcnt lgkmcnt(1)
	v_add_f32_e32 v6, v6, v24
	ds_bpermute_b32 v24, v23, v21
	v_cndmask_b32_e64 v21, -v21, v21, s[10:11]
	v_cndmask_b32_e64 v7, -v7, v7, s[10:11]
	s_waitcnt lgkmcnt(1)
	v_add_f32_e32 v7, v7, v25
	;; [unrolled: 8-line block ×4, first 2 shown]
	ds_bpermute_b32 v25, v23, v13
	s_waitcnt lgkmcnt(1)
	v_add_f32_e32 v8, v8, v24
	ds_bpermute_b32 v24, v23, v4
	v_cndmask_b32_e64 v4, -v4, v4, s[10:11]
	v_add_f32_e32 v16, v16, v26
	v_cndmask_b32_e64 v13, -v13, v13, s[10:11]
	ds_bpermute_b32 v26, v23, v16
	s_waitcnt lgkmcnt(1)
	v_add_f32_e32 v4, v4, v24
	ds_bpermute_b32 v24, v23, v14
	v_cndmask_b32_e64 v14, -v14, v14, s[10:11]
	v_add_f32_e32 v13, v13, v25
	ds_bpermute_b32 v25, v23, v15
	v_cndmask_b32_e64 v16, -v16, v16, s[10:11]
	s_waitcnt lgkmcnt(1)
	v_add_f32_e32 v14, v14, v24
	ds_bpermute_b32 v24, v23, v10
	ds_bpermute_b32 v23, v23, v9
	v_cndmask_b32_e64 v9, -v9, v9, s[10:11]
	v_cndmask_b32_e64 v15, -v15, v15, s[10:11]
	v_cndmask_b32_e64 v10, -v10, v10, s[10:11]
	s_waitcnt lgkmcnt(1)
	v_add_f32_e32 v10, v10, v24
	s_waitcnt lgkmcnt(0)
	v_add_f32_e32 v9, v9, v23
	v_xor_b32_e32 v23, 4, v11
	v_cmp_lt_i32_e64 s[10:11], v23, v22
	v_cndmask_b32_e64 v23, v11, v23, s[10:11]
	v_lshlrev_b32_e32 v23, 2, v23
	ds_bpermute_b32 v24, v23, v12
	v_add_f32_e32 v15, v15, v25
	v_and_b32_e32 v25, 4, v0
	v_cmp_eq_u32_e64 s[10:11], 0, v25
	v_cndmask_b32_e64 v12, -v12, v12, s[10:11]
	s_waitcnt lgkmcnt(0)
	v_add_f32_e32 v12, v12, v24
	ds_bpermute_b32 v24, v23, v6
	v_cndmask_b32_e64 v6, -v6, v6, s[10:11]
	ds_bpermute_b32 v25, v23, v5
	v_cndmask_b32_e64 v5, -v5, v5, s[10:11]
	v_add_f32_e32 v16, v16, v26
	s_waitcnt lgkmcnt(1)
	v_add_f32_e32 v6, v6, v24
	ds_bpermute_b32 v24, v23, v21
	v_cndmask_b32_e64 v21, -v21, v21, s[10:11]
	s_waitcnt lgkmcnt(1)
	v_add_f32_e32 v5, v5, v25
	ds_bpermute_b32 v25, v23, v7
	v_cndmask_b32_e64 v7, -v7, v7, s[10:11]
	;; [unrolled: 4-line block ×9, first 2 shown]
	ds_bpermute_b32 v26, v23, v16
	s_waitcnt lgkmcnt(2)
	v_add_f32_e32 v13, v13, v25
	ds_bpermute_b32 v25, v23, v15
	s_waitcnt lgkmcnt(2)
	v_add_f32_e32 v14, v14, v24
	ds_bpermute_b32 v24, v23, v10
	ds_bpermute_b32 v23, v23, v9
	v_cndmask_b32_e64 v9, -v9, v9, s[10:11]
	v_cndmask_b32_e64 v16, -v16, v16, s[10:11]
	;; [unrolled: 1-line block ×4, first 2 shown]
	s_waitcnt lgkmcnt(0)
	v_add_f32_e32 v9, v9, v23
	v_xor_b32_e32 v23, 8, v11
	v_cmp_lt_i32_e64 s[10:11], v23, v22
	v_cndmask_b32_e64 v23, v11, v23, s[10:11]
	v_lshlrev_b32_e32 v23, 2, v23
	v_add_f32_e32 v10, v10, v24
	ds_bpermute_b32 v24, v23, v12
	v_add_f32_e32 v15, v15, v25
	v_and_b32_e32 v25, 8, v0
	v_cmp_eq_u32_e64 s[10:11], 0, v25
	v_cndmask_b32_e64 v12, -v12, v12, s[10:11]
	s_waitcnt lgkmcnt(0)
	v_add_f32_e32 v12, v12, v24
	ds_bpermute_b32 v24, v23, v6
	ds_bpermute_b32 v25, v23, v5
	v_cndmask_b32_e64 v6, -v6, v6, s[10:11]
	v_cndmask_b32_e64 v5, -v5, v5, s[10:11]
	v_add_f32_e32 v16, v16, v26
	s_waitcnt lgkmcnt(1)
	v_add_f32_e32 v6, v6, v24
	ds_bpermute_b32 v24, v23, v21
	s_waitcnt lgkmcnt(1)
	v_add_f32_e32 v5, v5, v25
	ds_bpermute_b32 v25, v23, v7
	v_cndmask_b32_e64 v21, -v21, v21, s[10:11]
	v_cndmask_b32_e64 v7, -v7, v7, s[10:11]
	s_waitcnt lgkmcnt(1)
	v_add_f32_e32 v21, v21, v24
	ds_bpermute_b32 v24, v23, v2
	s_waitcnt lgkmcnt(1)
	v_add_f32_e32 v7, v7, v25
	ds_bpermute_b32 v25, v23, v1
	v_cndmask_b32_e64 v2, -v2, v2, s[10:11]
	v_cndmask_b32_e64 v1, -v1, v1, s[10:11]
	s_waitcnt lgkmcnt(1)
	v_add_f32_e32 v24, v2, v24
	ds_bpermute_b32 v2, v23, v8
	ds_bpermute_b32 v26, v23, v16
	s_waitcnt lgkmcnt(2)
	v_add_f32_e32 v25, v1, v25
	ds_bpermute_b32 v1, v23, v3
	v_cndmask_b32_e64 v8, -v8, v8, s[10:11]
	v_cndmask_b32_e64 v16, -v16, v16, s[10:11]
	s_waitcnt lgkmcnt(2)
	v_add_f32_e32 v8, v8, v2
	ds_bpermute_b32 v2, v23, v4
	v_cndmask_b32_e64 v3, -v3, v3, s[10:11]
	s_waitcnt lgkmcnt(2)
	v_add_f32_e32 v16, v16, v26
	s_waitcnt lgkmcnt(1)
	v_add_f32_e32 v26, v3, v1
	ds_bpermute_b32 v1, v23, v13
	v_cndmask_b32_e64 v3, -v4, v4, s[10:11]
	s_waitcnt lgkmcnt(1)
	v_add_f32_e32 v27, v3, v2
	ds_bpermute_b32 v2, v23, v14
	v_cndmask_b32_e64 v3, -v13, v13, s[10:11]
	;; [unrolled: 4-line block ×5, first 2 shown]
	s_waitcnt lgkmcnt(1)
	v_add_f32_e32 v10, v3, v2
	v_cndmask_b32_e64 v2, -v9, v9, s[10:11]
	s_load_dword s12, s[4:5], 0x20
	s_waitcnt lgkmcnt(0)
	v_add_f32_e32 v9, v2, v1
	v_xor_b32_e32 v1, 16, v11
	v_cmp_lt_i32_e64 s[4:5], v1, v22
	v_cndmask_b32_e64 v1, v11, v1, s[4:5]
	v_lshlrev_b32_e32 v11, 2, v1
	ds_bpermute_b32 v1, v11, v12
	ds_bpermute_b32 v2, v11, v16
	v_and_b32_e32 v0, 16, v0
	v_cmp_eq_u32_e64 s[4:5], 0, v0
	v_cndmask_b32_e64 v0, -v12, v12, s[4:5]
	ds_bpermute_b32 v3, v11, v6
	s_waitcnt lgkmcnt(2)
	v_add_f32_e32 v0, v0, v1
	v_cndmask_b32_e64 v1, -v16, v16, s[4:5]
	ds_bpermute_b32 v4, v11, v5
	s_waitcnt lgkmcnt(2)
	v_add_f32_e32 v1, v1, v2
	;; [unrolled: 4-line block ×3, first 2 shown]
	v_cndmask_b32_e64 v3, -v5, v5, s[4:5]
	s_waitcnt lgkmcnt(1)
	v_add_f32_e32 v3, v3, v4
	ds_bpermute_b32 v5, v11, v7
	v_cndmask_b32_e64 v4, -v21, v21, s[4:5]
	s_waitcnt lgkmcnt(1)
	v_add_f32_e32 v4, v4, v6
	ds_bpermute_b32 v6, v11, v24
	;; [unrolled: 4-line block ×8, first 2 shown]
	v_cndmask_b32_e64 v16, -v28, v28, s[4:5]
	s_waitcnt lgkmcnt(1)
	v_add_f32_e32 v15, v16, v15
	v_cndmask_b32_e64 v16, -v29, v29, s[4:5]
	ds_bpermute_b32 v21, v11, v30
	s_waitcnt lgkmcnt(1)
	v_add_f32_e32 v16, v16, v12
	ds_bpermute_b32 v12, v11, v10
	ds_bpermute_b32 v11, v11, v9
	v_cndmask_b32_e64 v22, -v30, v30, s[4:5]
	v_cndmask_b32_e64 v10, -v10, v10, s[4:5]
	;; [unrolled: 1-line block ×3, first 2 shown]
	s_mul_i32 s4, s18, s7
	s_mul_hi_u32 s5, s18, s6
	s_add_i32 s4, s5, s4
	s_mul_i32 s5, s19, s6
	s_add_i32 s5, s4, s5
	s_mul_i32 s4, s18, s6
	s_lshl_b64 s[4:5], s[4:5], 2
	s_waitcnt lgkmcnt(2)
	v_add_f32_e32 v25, v22, v21
	s_waitcnt lgkmcnt(1)
	v_add_f32_e32 v26, v10, v12
	;; [unrolled: 2-line block ×3, first 2 shown]
	s_add_u32 s4, s14, s4
	v_add_f32_e32 v9, v0, v4
	v_add_f32_e32 v10, v1, v5
	;; [unrolled: 1-line block ×4, first 2 shown]
	s_addc_u32 s5, s15, s5
	v_add_f32_e32 v21, v8, v16
	v_add_f32_e32 v22, v13, v25
	;; [unrolled: 1-line block ×4, first 2 shown]
	s_and_saveexec_b64 s[6:7], vcc
	s_cbranch_execz .LBB6_10
; %bb.9:
	v_add_f32_e32 v28, v12, v24
	v_add_f32_e32 v29, v11, v23
	;; [unrolled: 1-line block ×4, first 2 shown]
	v_mul_f32_e32 v31, s12, v28
	v_mul_f32_e32 v30, s12, v29
	;; [unrolled: 1-line block ×4, first 2 shown]
	global_store_dwordx4 v17, v[28:31], s[4:5]
.LBB6_10:
	s_or_b64 exec, exec, s[6:7]
	v_sub_f32_e32 v0, v0, v4
	v_sub_f32_e32 v1, v1, v5
	;; [unrolled: 1-line block ×8, first 2 shown]
	s_and_saveexec_b64 s[6:7], s[0:1]
	s_cbranch_execnz .LBB6_14
; %bb.11:
	s_or_b64 exec, exec, s[6:7]
	s_and_saveexec_b64 s[0:1], s[2:3]
	s_cbranch_execnz .LBB6_15
.LBB6_12:
	s_or_b64 exec, exec, s[0:1]
	s_and_saveexec_b64 s[0:1], s[8:9]
	s_cbranch_execnz .LBB6_16
.LBB6_13:
	s_endpgm
.LBB6_14:
	v_add_f32_e32 v8, v0, v4
	v_add_f32_e32 v14, v1, v5
	;; [unrolled: 1-line block ×4, first 2 shown]
	v_mul_f32_e32 v13, s12, v8
	v_mul_f32_e32 v14, s12, v14
	;; [unrolled: 1-line block ×4, first 2 shown]
	global_store_dwordx4 v18, v[13:16], s[4:5]
	s_or_b64 exec, exec, s[6:7]
	s_and_saveexec_b64 s[0:1], s[2:3]
	s_cbranch_execz .LBB6_12
.LBB6_15:
	v_sub_f32_e32 v8, v9, v21
	v_sub_f32_e32 v9, v10, v22
	;; [unrolled: 1-line block ×4, first 2 shown]
	v_mul_f32_e32 v8, s12, v8
	v_mul_f32_e32 v9, s12, v9
	;; [unrolled: 1-line block ×4, first 2 shown]
	global_store_dwordx4 v19, v[8:11], s[4:5]
	s_or_b64 exec, exec, s[0:1]
	s_and_saveexec_b64 s[0:1], s[8:9]
	s_cbranch_execz .LBB6_13
.LBB6_16:
	v_sub_f32_e32 v0, v0, v4
	v_sub_f32_e32 v1, v1, v5
	;; [unrolled: 1-line block ×4, first 2 shown]
	v_mul_f32_e32 v0, s12, v0
	v_mul_f32_e32 v1, s12, v1
	;; [unrolled: 1-line block ×4, first 2 shown]
	global_store_dwordx4 v20, v[0:3], s[4:5]
	s_endpgm
	.section	.rodata,"a",@progbits
	.p2align	6, 0x0
	.amdhsa_kernel _Z30fast_hadamard_transform_kernelI37fast_hadamard_transform_kernel_traitsILi32ELi9EfEEv18HadamardParamsBase
		.amdhsa_group_segment_fixed_size 0
		.amdhsa_private_segment_fixed_size 0
		.amdhsa_kernarg_size 312
		.amdhsa_user_sgpr_count 6
		.amdhsa_user_sgpr_private_segment_buffer 1
		.amdhsa_user_sgpr_dispatch_ptr 0
		.amdhsa_user_sgpr_queue_ptr 0
		.amdhsa_user_sgpr_kernarg_segment_ptr 1
		.amdhsa_user_sgpr_dispatch_id 0
		.amdhsa_user_sgpr_flat_scratch_init 0
		.amdhsa_user_sgpr_private_segment_size 0
		.amdhsa_uses_dynamic_stack 0
		.amdhsa_system_sgpr_private_segment_wavefront_offset 0
		.amdhsa_system_sgpr_workgroup_id_x 1
		.amdhsa_system_sgpr_workgroup_id_y 0
		.amdhsa_system_sgpr_workgroup_id_z 0
		.amdhsa_system_sgpr_workgroup_info 0
		.amdhsa_system_vgpr_workitem_id 0
		.amdhsa_next_free_vgpr 34
		.amdhsa_next_free_sgpr 21
		.amdhsa_reserve_vcc 1
		.amdhsa_reserve_flat_scratch 0
		.amdhsa_float_round_mode_32 0
		.amdhsa_float_round_mode_16_64 0
		.amdhsa_float_denorm_mode_32 3
		.amdhsa_float_denorm_mode_16_64 3
		.amdhsa_dx10_clamp 1
		.amdhsa_ieee_mode 1
		.amdhsa_fp16_overflow 0
		.amdhsa_exception_fp_ieee_invalid_op 0
		.amdhsa_exception_fp_denorm_src 0
		.amdhsa_exception_fp_ieee_div_zero 0
		.amdhsa_exception_fp_ieee_overflow 0
		.amdhsa_exception_fp_ieee_underflow 0
		.amdhsa_exception_fp_ieee_inexact 0
		.amdhsa_exception_int_div_zero 0
	.end_amdhsa_kernel
	.section	.text._Z30fast_hadamard_transform_kernelI37fast_hadamard_transform_kernel_traitsILi32ELi9EfEEv18HadamardParamsBase,"axG",@progbits,_Z30fast_hadamard_transform_kernelI37fast_hadamard_transform_kernel_traitsILi32ELi9EfEEv18HadamardParamsBase,comdat
.Lfunc_end6:
	.size	_Z30fast_hadamard_transform_kernelI37fast_hadamard_transform_kernel_traitsILi32ELi9EfEEv18HadamardParamsBase, .Lfunc_end6-_Z30fast_hadamard_transform_kernelI37fast_hadamard_transform_kernel_traitsILi32ELi9EfEEv18HadamardParamsBase
                                        ; -- End function
	.set _Z30fast_hadamard_transform_kernelI37fast_hadamard_transform_kernel_traitsILi32ELi9EfEEv18HadamardParamsBase.num_vgpr, 34
	.set _Z30fast_hadamard_transform_kernelI37fast_hadamard_transform_kernel_traitsILi32ELi9EfEEv18HadamardParamsBase.num_agpr, 0
	.set _Z30fast_hadamard_transform_kernelI37fast_hadamard_transform_kernel_traitsILi32ELi9EfEEv18HadamardParamsBase.numbered_sgpr, 21
	.set _Z30fast_hadamard_transform_kernelI37fast_hadamard_transform_kernel_traitsILi32ELi9EfEEv18HadamardParamsBase.num_named_barrier, 0
	.set _Z30fast_hadamard_transform_kernelI37fast_hadamard_transform_kernel_traitsILi32ELi9EfEEv18HadamardParamsBase.private_seg_size, 0
	.set _Z30fast_hadamard_transform_kernelI37fast_hadamard_transform_kernel_traitsILi32ELi9EfEEv18HadamardParamsBase.uses_vcc, 1
	.set _Z30fast_hadamard_transform_kernelI37fast_hadamard_transform_kernel_traitsILi32ELi9EfEEv18HadamardParamsBase.uses_flat_scratch, 0
	.set _Z30fast_hadamard_transform_kernelI37fast_hadamard_transform_kernel_traitsILi32ELi9EfEEv18HadamardParamsBase.has_dyn_sized_stack, 0
	.set _Z30fast_hadamard_transform_kernelI37fast_hadamard_transform_kernel_traitsILi32ELi9EfEEv18HadamardParamsBase.has_recursion, 0
	.set _Z30fast_hadamard_transform_kernelI37fast_hadamard_transform_kernel_traitsILi32ELi9EfEEv18HadamardParamsBase.has_indirect_call, 0
	.section	.AMDGPU.csdata,"",@progbits
; Kernel info:
; codeLenInByte = 2872
; TotalNumSgprs: 25
; NumVgprs: 34
; ScratchSize: 0
; MemoryBound: 0
; FloatMode: 240
; IeeeMode: 1
; LDSByteSize: 0 bytes/workgroup (compile time only)
; SGPRBlocks: 3
; VGPRBlocks: 8
; NumSGPRsForWavesPerEU: 25
; NumVGPRsForWavesPerEU: 34
; Occupancy: 7
; WaveLimiterHint : 0
; COMPUTE_PGM_RSRC2:SCRATCH_EN: 0
; COMPUTE_PGM_RSRC2:USER_SGPR: 6
; COMPUTE_PGM_RSRC2:TRAP_HANDLER: 0
; COMPUTE_PGM_RSRC2:TGID_X_EN: 1
; COMPUTE_PGM_RSRC2:TGID_Y_EN: 0
; COMPUTE_PGM_RSRC2:TGID_Z_EN: 0
; COMPUTE_PGM_RSRC2:TIDIG_COMP_CNT: 0
	.section	.text._Z30fast_hadamard_transform_kernelI37fast_hadamard_transform_kernel_traitsILi128ELi10EfEEv18HadamardParamsBase,"axG",@progbits,_Z30fast_hadamard_transform_kernelI37fast_hadamard_transform_kernel_traitsILi128ELi10EfEEv18HadamardParamsBase,comdat
	.protected	_Z30fast_hadamard_transform_kernelI37fast_hadamard_transform_kernel_traitsILi128ELi10EfEEv18HadamardParamsBase ; -- Begin function _Z30fast_hadamard_transform_kernelI37fast_hadamard_transform_kernel_traitsILi128ELi10EfEEv18HadamardParamsBase
	.globl	_Z30fast_hadamard_transform_kernelI37fast_hadamard_transform_kernel_traitsILi128ELi10EfEEv18HadamardParamsBase
	.p2align	8
	.type	_Z30fast_hadamard_transform_kernelI37fast_hadamard_transform_kernel_traitsILi128ELi10EfEEv18HadamardParamsBase,@function
_Z30fast_hadamard_transform_kernelI37fast_hadamard_transform_kernel_traitsILi128ELi10EfEEv18HadamardParamsBase: ; @_Z30fast_hadamard_transform_kernelI37fast_hadamard_transform_kernel_traitsILi128ELi10EfEEv18HadamardParamsBase
; %bb.0:
	s_load_dwordx4 s[12:15], s[4:5], 0x10
	s_load_dword s16, s[4:5], 0x4
	s_load_dwordx4 s[8:11], s[4:5], 0x28
	s_ashr_i32 s7, s6, 31
	v_lshlrev_b32_e32 v1, 2, v0
	s_waitcnt lgkmcnt(0)
	s_mul_hi_u32 s0, s12, s6
	s_mul_i32 s1, s12, s7
	s_add_i32 s0, s0, s1
	s_mul_i32 s1, s13, s6
	s_add_i32 s1, s0, s1
	s_mul_i32 s0, s12, s6
	s_load_dword s12, s[4:5], 0x44
	s_lshl_b64 s[0:1], s[0:1], 2
	s_add_u32 s2, s8, s0
	s_addc_u32 s3, s9, s1
	v_cmp_gt_u32_e32 vcc, s16, v1
	v_mov_b32_e32 v1, 0
	v_lshlrev_b32_e32 v9, 4, v0
	v_mov_b32_e32 v5, 0
	v_mov_b32_e32 v6, 0
	;; [unrolled: 1-line block ×4, first 2 shown]
	s_and_saveexec_b64 s[0:1], vcc
	s_cbranch_execz .LBB7_2
; %bb.1:
	global_load_dwordx4 v[5:8], v9, s[2:3]
.LBB7_2:
	s_or_b64 exec, exec, s[0:1]
	s_waitcnt lgkmcnt(0)
	s_and_b32 s0, 0xffff, s12
	v_add_u32_e32 v2, s0, v0
	v_lshlrev_b32_e32 v3, 2, v2
	v_cmp_gt_u32_e64 s[0:1], s16, v3
	v_lshlrev_b32_e32 v10, 4, v2
	v_mov_b32_e32 v2, 0
	v_mov_b32_e32 v3, 0
	;; [unrolled: 1-line block ×3, first 2 shown]
	s_and_saveexec_b64 s[8:9], s[0:1]
	s_cbranch_execz .LBB7_4
; %bb.3:
	global_load_dwordx4 v[1:4], v10, s[2:3]
.LBB7_4:
	s_or_b64 exec, exec, s[8:9]
	s_waitcnt vmcnt(0)
	v_add_f32_e32 v11, v5, v6
	v_sub_f32_e32 v5, v5, v6
	v_add_f32_e32 v6, v1, v2
	v_sub_f32_e32 v1, v1, v2
	v_add_f32_e32 v2, v7, v8
	v_sub_f32_e32 v7, v7, v8
	v_add_f32_e32 v8, v3, v4
	v_sub_f32_e32 v3, v3, v4
	v_add_f32_e32 v4, v11, v2
	v_sub_f32_e32 v2, v11, v2
	v_add_f32_e32 v11, v6, v8
	v_sub_f32_e32 v6, v6, v8
	v_add_f32_e32 v8, v5, v7
	v_sub_f32_e32 v5, v5, v7
	v_add_f32_e32 v7, v1, v3
	v_sub_f32_e32 v1, v1, v3
	v_mbcnt_lo_u32_b32 v3, -1, 0
	v_mbcnt_hi_u32_b32 v3, -1, v3
	v_and_b32_e32 v12, 64, v3
	v_add_u32_e32 v12, 64, v12
	v_xor_b32_e32 v13, 1, v3
	v_cmp_lt_i32_e64 s[2:3], v13, v12
	v_cndmask_b32_e64 v13, v3, v13, s[2:3]
	v_lshlrev_b32_e32 v13, 2, v13
	ds_bpermute_b32 v14, v13, v4
	v_and_b32_e32 v15, 1, v0
	v_cmp_eq_u32_e64 s[2:3], 0, v15
	v_cndmask_b32_e64 v4, -v4, v4, s[2:3]
	ds_bpermute_b32 v16, v13, v8
	s_waitcnt lgkmcnt(1)
	v_add_f32_e32 v4, v4, v14
	ds_bpermute_b32 v14, v13, v2
	v_cndmask_b32_e64 v2, -v2, v2, s[2:3]
	v_cndmask_b32_e64 v8, -v8, v8, s[2:3]
	s_waitcnt lgkmcnt(1)
	v_add_f32_e32 v8, v8, v16
	ds_bpermute_b32 v16, v13, v5
	s_waitcnt lgkmcnt(1)
	v_add_f32_e32 v2, v2, v14
	ds_bpermute_b32 v14, v13, v11
	v_cndmask_b32_e64 v11, -v11, v11, s[2:3]
	v_cndmask_b32_e64 v5, -v5, v5, s[2:3]
	s_waitcnt lgkmcnt(1)
	v_add_f32_e32 v5, v5, v16
	ds_bpermute_b32 v16, v13, v7
	s_waitcnt lgkmcnt(1)
	v_add_f32_e32 v11, v11, v14
	ds_bpermute_b32 v14, v13, v6
	v_cndmask_b32_e64 v6, -v6, v6, s[2:3]
	ds_bpermute_b32 v17, v13, v1
	v_cndmask_b32_e64 v7, -v7, v7, s[2:3]
	s_waitcnt lgkmcnt(2)
	v_add_f32_e32 v7, v7, v16
	s_waitcnt lgkmcnt(1)
	v_add_f32_e32 v6, v6, v14
	v_xor_b32_e32 v14, 2, v3
	v_cmp_lt_i32_e64 s[8:9], v14, v12
	v_cndmask_b32_e64 v14, v3, v14, s[8:9]
	v_lshlrev_b32_e32 v14, 2, v14
	ds_bpermute_b32 v16, v14, v4
	v_cndmask_b32_e64 v1, -v1, v1, s[2:3]
	s_waitcnt lgkmcnt(1)
	v_add_f32_e32 v1, v1, v17
	v_and_b32_e32 v17, 2, v0
	v_cmp_eq_u32_e64 s[8:9], 0, v17
	v_cndmask_b32_e64 v4, -v4, v4, s[8:9]
	s_waitcnt lgkmcnt(0)
	v_add_f32_e32 v4, v4, v16
	ds_bpermute_b32 v16, v14, v2
	v_cndmask_b32_e64 v2, -v2, v2, s[8:9]
	ds_bpermute_b32 v17, v14, v5
	v_cndmask_b32_e64 v5, -v5, v5, s[8:9]
	ds_bpermute_b32 v18, v14, v8
	s_waitcnt lgkmcnt(2)
	v_add_f32_e32 v2, v2, v16
	ds_bpermute_b32 v16, v14, v11
	v_cndmask_b32_e64 v11, -v11, v11, s[8:9]
	s_waitcnt lgkmcnt(2)
	v_add_f32_e32 v5, v5, v17
	ds_bpermute_b32 v17, v14, v7
	v_cndmask_b32_e64 v8, -v8, v8, s[8:9]
	s_waitcnt lgkmcnt(1)
	v_add_f32_e32 v11, v11, v16
	ds_bpermute_b32 v16, v14, v6
	ds_bpermute_b32 v14, v14, v1
	v_cndmask_b32_e64 v1, -v1, v1, s[8:9]
	v_cndmask_b32_e64 v7, -v7, v7, s[8:9]
	v_cndmask_b32_e64 v6, -v6, v6, s[8:9]
	s_waitcnt lgkmcnt(1)
	v_add_f32_e32 v6, v6, v16
	s_waitcnt lgkmcnt(0)
	v_add_f32_e32 v1, v1, v14
	v_xor_b32_e32 v14, 4, v3
	v_cmp_lt_i32_e64 s[8:9], v14, v12
	v_cndmask_b32_e64 v14, v3, v14, s[8:9]
	v_lshlrev_b32_e32 v14, 2, v14
	ds_bpermute_b32 v16, v14, v4
	v_add_f32_e32 v7, v7, v17
	v_and_b32_e32 v17, 4, v0
	v_cmp_eq_u32_e64 s[8:9], 0, v17
	v_cndmask_b32_e64 v4, -v4, v4, s[8:9]
	s_waitcnt lgkmcnt(0)
	v_add_f32_e32 v4, v4, v16
	ds_bpermute_b32 v16, v14, v2
	v_cndmask_b32_e64 v2, -v2, v2, s[8:9]
	ds_bpermute_b32 v17, v14, v5
	v_add_f32_e32 v8, v8, v18
	v_cndmask_b32_e64 v5, -v5, v5, s[8:9]
	s_waitcnt lgkmcnt(1)
	v_add_f32_e32 v2, v2, v16
	ds_bpermute_b32 v16, v14, v11
	v_cndmask_b32_e64 v11, -v11, v11, s[8:9]
	ds_bpermute_b32 v18, v14, v8
	s_waitcnt lgkmcnt(2)
	v_add_f32_e32 v5, v5, v17
	ds_bpermute_b32 v17, v14, v7
	s_waitcnt lgkmcnt(2)
	v_add_f32_e32 v11, v11, v16
	ds_bpermute_b32 v16, v14, v6
	ds_bpermute_b32 v14, v14, v1
	v_cndmask_b32_e64 v1, -v1, v1, s[8:9]
	v_cndmask_b32_e64 v8, -v8, v8, s[8:9]
	;; [unrolled: 1-line block ×4, first 2 shown]
	s_waitcnt lgkmcnt(0)
	v_add_f32_e32 v1, v1, v14
	v_xor_b32_e32 v14, 8, v3
	v_cmp_lt_i32_e64 s[8:9], v14, v12
	v_cndmask_b32_e64 v14, v3, v14, s[8:9]
	v_lshlrev_b32_e32 v14, 2, v14
	v_add_f32_e32 v6, v6, v16
	ds_bpermute_b32 v16, v14, v4
	v_add_f32_e32 v7, v7, v17
	v_and_b32_e32 v17, 8, v0
	v_cmp_eq_u32_e64 s[8:9], 0, v17
	v_cndmask_b32_e64 v4, -v4, v4, s[8:9]
	s_waitcnt lgkmcnt(0)
	v_add_f32_e32 v4, v4, v16
	ds_bpermute_b32 v16, v14, v2
	v_cndmask_b32_e64 v2, -v2, v2, s[8:9]
	ds_bpermute_b32 v17, v14, v5
	v_add_f32_e32 v8, v8, v18
	v_cndmask_b32_e64 v5, -v5, v5, s[8:9]
	s_waitcnt lgkmcnt(1)
	v_add_f32_e32 v2, v2, v16
	ds_bpermute_b32 v16, v14, v11
	v_cndmask_b32_e64 v11, -v11, v11, s[8:9]
	ds_bpermute_b32 v18, v14, v8
	s_waitcnt lgkmcnt(2)
	v_add_f32_e32 v5, v5, v17
	ds_bpermute_b32 v17, v14, v7
	s_waitcnt lgkmcnt(2)
	v_add_f32_e32 v11, v11, v16
	ds_bpermute_b32 v16, v14, v6
	ds_bpermute_b32 v14, v14, v1
	v_cndmask_b32_e64 v1, -v1, v1, s[8:9]
	v_cndmask_b32_e64 v8, -v8, v8, s[8:9]
	v_cndmask_b32_e64 v7, -v7, v7, s[8:9]
	v_cndmask_b32_e64 v6, -v6, v6, s[8:9]
	s_waitcnt lgkmcnt(0)
	v_add_f32_e32 v1, v1, v14
	v_xor_b32_e32 v14, 16, v3
	v_cmp_lt_i32_e64 s[8:9], v14, v12
	v_cndmask_b32_e64 v14, v3, v14, s[8:9]
	v_lshlrev_b32_e32 v14, 2, v14
	v_add_f32_e32 v6, v6, v16
	ds_bpermute_b32 v16, v14, v4
	v_add_f32_e32 v7, v7, v17
	v_and_b32_e32 v17, 16, v0
	v_cmp_eq_u32_e64 s[8:9], 0, v17
	v_cndmask_b32_e64 v4, -v4, v4, s[8:9]
	s_waitcnt lgkmcnt(0)
	v_add_f32_e32 v4, v4, v16
	ds_bpermute_b32 v16, v14, v2
	v_cndmask_b32_e64 v2, -v2, v2, s[8:9]
	ds_bpermute_b32 v17, v14, v5
	v_add_f32_e32 v8, v8, v18
	v_cndmask_b32_e64 v5, -v5, v5, s[8:9]
	s_waitcnt lgkmcnt(1)
	v_add_f32_e32 v16, v2, v16
	ds_bpermute_b32 v2, v14, v11
	v_cndmask_b32_e64 v11, -v11, v11, s[8:9]
	ds_bpermute_b32 v18, v14, v8
	s_waitcnt lgkmcnt(2)
	v_add_f32_e32 v5, v5, v17
	ds_bpermute_b32 v17, v14, v7
	s_waitcnt lgkmcnt(2)
	v_add_f32_e32 v11, v11, v2
	ds_bpermute_b32 v2, v14, v6
	ds_bpermute_b32 v14, v14, v1
	v_cndmask_b32_e64 v1, -v1, v1, s[8:9]
	v_cndmask_b32_e64 v8, -v8, v8, s[8:9]
	;; [unrolled: 1-line block ×4, first 2 shown]
	s_waitcnt lgkmcnt(0)
	v_add_f32_e32 v14, v1, v14
	v_xor_b32_e32 v1, 32, v3
	v_cmp_lt_i32_e64 s[8:9], v1, v12
	v_cndmask_b32_e64 v1, v3, v1, s[8:9]
	v_add_f32_e32 v7, v7, v17
	v_add_f32_e32 v17, v6, v2
	v_lshlrev_b32_e32 v6, 2, v1
	ds_bpermute_b32 v1, v6, v4
	v_add_f32_e32 v8, v8, v18
	v_and_b32_e32 v2, 32, v0
	ds_bpermute_b32 v3, v6, v8
	v_cmp_eq_u32_e64 s[8:9], 0, v2
	v_cndmask_b32_e64 v2, -v4, v4, s[8:9]
	ds_bpermute_b32 v4, v6, v16
	s_waitcnt lgkmcnt(2)
	v_add_f32_e32 v1, v2, v1
	v_cndmask_b32_e64 v2, -v8, v8, s[8:9]
	ds_bpermute_b32 v8, v6, v5
	ds_bpermute_b32 v12, v6, v11
	s_waitcnt lgkmcnt(3)
	v_add_f32_e32 v2, v2, v3
	v_cndmask_b32_e64 v3, -v16, v16, s[8:9]
	s_waitcnt lgkmcnt(2)
	v_add_f32_e32 v3, v3, v4
	v_cndmask_b32_e64 v4, -v5, v5, s[8:9]
	s_waitcnt lgkmcnt(1)
	v_add_f32_e32 v4, v4, v8
	ds_bpermute_b32 v8, v6, v7
	v_cndmask_b32_e64 v5, -v11, v11, s[8:9]
	ds_bpermute_b32 v11, v6, v17
	s_waitcnt lgkmcnt(2)
	v_add_f32_e32 v5, v5, v12
	ds_bpermute_b32 v12, v6, v14
	v_cndmask_b32_e64 v7, -v7, v7, s[8:9]
	s_waitcnt lgkmcnt(2)
	v_add_f32_e32 v6, v7, v8
	v_cndmask_b32_e64 v7, -v17, v17, s[8:9]
	s_waitcnt lgkmcnt(1)
	v_add_f32_e32 v7, v7, v11
	v_cndmask_b32_e64 v8, -v14, v14, s[8:9]
	v_lshrrev_b32_e32 v11, 6, v0
	s_waitcnt lgkmcnt(0)
	v_add_f32_e32 v8, v8, v12
	v_lshrrev_b32_e32 v12, 1, v0
	v_xor_b32_e32 v0, v11, v0
	v_lshl_add_u32 v11, v0, 4, 0
	v_lshl_or_b32 v0, v15, 6, v12
	v_xor_b32_e32 v0, v0, v15
	s_barrier
	ds_write_b128 v11, v[1:4]
	ds_write_b128 v11, v[5:8] offset:2048
	v_lshl_add_u32 v8, v0, 4, 0
	s_waitcnt lgkmcnt(0)
	s_barrier
	ds_read_b128 v[0:3], v8
	ds_read_b128 v[4:7], v8 offset:2048
	s_load_dword s8, s[4:5], 0x20
	s_waitcnt lgkmcnt(0)
	s_barrier
	ds_bpermute_b32 v12, v13, v0
	v_cndmask_b32_e64 v0, -v0, v0, s[2:3]
	ds_bpermute_b32 v14, v13, v1
	v_cndmask_b32_e64 v1, -v1, v1, s[2:3]
	s_waitcnt lgkmcnt(0)
	v_add_f32_e32 v0, v0, v12
	ds_bpermute_b32 v12, v13, v2
	v_cndmask_b32_e64 v2, -v2, v2, s[2:3]
	v_add_f32_e32 v1, v1, v14
	ds_bpermute_b32 v14, v13, v3
	v_cndmask_b32_e64 v3, -v3, v3, s[2:3]
	s_waitcnt lgkmcnt(1)
	v_add_f32_e32 v2, v2, v12
	ds_bpermute_b32 v12, v13, v4
	v_cndmask_b32_e64 v4, -v4, v4, s[2:3]
	s_waitcnt lgkmcnt(1)
	;; [unrolled: 4-line block ×3, first 2 shown]
	v_add_f32_e32 v4, v4, v12
	ds_bpermute_b32 v12, v13, v6
	ds_bpermute_b32 v13, v13, v7
	v_cndmask_b32_e64 v6, -v6, v6, s[2:3]
	v_cndmask_b32_e64 v7, -v7, v7, s[2:3]
	s_waitcnt lgkmcnt(2)
	v_add_f32_e32 v5, v5, v14
	s_waitcnt lgkmcnt(1)
	v_add_f32_e32 v6, v6, v12
	;; [unrolled: 2-line block ×3, first 2 shown]
	s_mul_i32 s2, s14, s7
	s_mul_hi_u32 s3, s14, s6
	ds_write_b128 v8, v[0:3]
	ds_write_b128 v8, v[4:7] offset:2048
	s_waitcnt lgkmcnt(0)
	s_barrier
	ds_read_b128 v[0:3], v11
	ds_read_b128 v[4:7], v11 offset:2048
	s_add_i32 s2, s3, s2
	s_mul_i32 s3, s15, s6
	s_add_i32 s3, s2, s3
	s_mul_i32 s2, s14, s6
	s_lshl_b64 s[2:3], s[2:3], 2
	s_add_u32 s2, s10, s2
	s_addc_u32 s3, s11, s3
	s_and_saveexec_b64 s[4:5], vcc
	s_cbranch_execnz .LBB7_7
; %bb.5:
	s_or_b64 exec, exec, s[4:5]
	s_and_saveexec_b64 s[4:5], s[0:1]
	s_cbranch_execnz .LBB7_8
.LBB7_6:
	s_endpgm
.LBB7_7:
	s_waitcnt lgkmcnt(0)
	v_add_f32_e32 v8, v3, v7
	v_add_f32_e32 v11, v2, v6
	;; [unrolled: 1-line block ×4, first 2 shown]
	v_mul_f32_e32 v14, s8, v8
	v_mul_f32_e32 v13, s8, v11
	;; [unrolled: 1-line block ×4, first 2 shown]
	global_store_dwordx4 v9, v[11:14], s[2:3]
	s_or_b64 exec, exec, s[4:5]
	s_and_saveexec_b64 s[4:5], s[0:1]
	s_cbranch_execz .LBB7_6
.LBB7_8:
	s_waitcnt lgkmcnt(0)
	v_sub_f32_e32 v0, v0, v4
	v_sub_f32_e32 v1, v1, v5
	;; [unrolled: 1-line block ×4, first 2 shown]
	v_mul_f32_e32 v0, s8, v0
	v_mul_f32_e32 v1, s8, v1
	;; [unrolled: 1-line block ×4, first 2 shown]
	global_store_dwordx4 v10, v[0:3], s[2:3]
	s_endpgm
	.section	.rodata,"a",@progbits
	.p2align	6, 0x0
	.amdhsa_kernel _Z30fast_hadamard_transform_kernelI37fast_hadamard_transform_kernel_traitsILi128ELi10EfEEv18HadamardParamsBase
		.amdhsa_group_segment_fixed_size 0
		.amdhsa_private_segment_fixed_size 0
		.amdhsa_kernarg_size 312
		.amdhsa_user_sgpr_count 6
		.amdhsa_user_sgpr_private_segment_buffer 1
		.amdhsa_user_sgpr_dispatch_ptr 0
		.amdhsa_user_sgpr_queue_ptr 0
		.amdhsa_user_sgpr_kernarg_segment_ptr 1
		.amdhsa_user_sgpr_dispatch_id 0
		.amdhsa_user_sgpr_flat_scratch_init 0
		.amdhsa_user_sgpr_private_segment_size 0
		.amdhsa_uses_dynamic_stack 0
		.amdhsa_system_sgpr_private_segment_wavefront_offset 0
		.amdhsa_system_sgpr_workgroup_id_x 1
		.amdhsa_system_sgpr_workgroup_id_y 0
		.amdhsa_system_sgpr_workgroup_id_z 0
		.amdhsa_system_sgpr_workgroup_info 0
		.amdhsa_system_vgpr_workitem_id 0
		.amdhsa_next_free_vgpr 19
		.amdhsa_next_free_sgpr 17
		.amdhsa_reserve_vcc 1
		.amdhsa_reserve_flat_scratch 0
		.amdhsa_float_round_mode_32 0
		.amdhsa_float_round_mode_16_64 0
		.amdhsa_float_denorm_mode_32 3
		.amdhsa_float_denorm_mode_16_64 3
		.amdhsa_dx10_clamp 1
		.amdhsa_ieee_mode 1
		.amdhsa_fp16_overflow 0
		.amdhsa_exception_fp_ieee_invalid_op 0
		.amdhsa_exception_fp_denorm_src 0
		.amdhsa_exception_fp_ieee_div_zero 0
		.amdhsa_exception_fp_ieee_overflow 0
		.amdhsa_exception_fp_ieee_underflow 0
		.amdhsa_exception_fp_ieee_inexact 0
		.amdhsa_exception_int_div_zero 0
	.end_amdhsa_kernel
	.section	.text._Z30fast_hadamard_transform_kernelI37fast_hadamard_transform_kernel_traitsILi128ELi10EfEEv18HadamardParamsBase,"axG",@progbits,_Z30fast_hadamard_transform_kernelI37fast_hadamard_transform_kernel_traitsILi128ELi10EfEEv18HadamardParamsBase,comdat
.Lfunc_end7:
	.size	_Z30fast_hadamard_transform_kernelI37fast_hadamard_transform_kernel_traitsILi128ELi10EfEEv18HadamardParamsBase, .Lfunc_end7-_Z30fast_hadamard_transform_kernelI37fast_hadamard_transform_kernel_traitsILi128ELi10EfEEv18HadamardParamsBase
                                        ; -- End function
	.set _Z30fast_hadamard_transform_kernelI37fast_hadamard_transform_kernel_traitsILi128ELi10EfEEv18HadamardParamsBase.num_vgpr, 19
	.set _Z30fast_hadamard_transform_kernelI37fast_hadamard_transform_kernel_traitsILi128ELi10EfEEv18HadamardParamsBase.num_agpr, 0
	.set _Z30fast_hadamard_transform_kernelI37fast_hadamard_transform_kernel_traitsILi128ELi10EfEEv18HadamardParamsBase.numbered_sgpr, 17
	.set _Z30fast_hadamard_transform_kernelI37fast_hadamard_transform_kernel_traitsILi128ELi10EfEEv18HadamardParamsBase.num_named_barrier, 0
	.set _Z30fast_hadamard_transform_kernelI37fast_hadamard_transform_kernel_traitsILi128ELi10EfEEv18HadamardParamsBase.private_seg_size, 0
	.set _Z30fast_hadamard_transform_kernelI37fast_hadamard_transform_kernel_traitsILi128ELi10EfEEv18HadamardParamsBase.uses_vcc, 1
	.set _Z30fast_hadamard_transform_kernelI37fast_hadamard_transform_kernel_traitsILi128ELi10EfEEv18HadamardParamsBase.uses_flat_scratch, 0
	.set _Z30fast_hadamard_transform_kernelI37fast_hadamard_transform_kernel_traitsILi128ELi10EfEEv18HadamardParamsBase.has_dyn_sized_stack, 0
	.set _Z30fast_hadamard_transform_kernelI37fast_hadamard_transform_kernel_traitsILi128ELi10EfEEv18HadamardParamsBase.has_recursion, 0
	.set _Z30fast_hadamard_transform_kernelI37fast_hadamard_transform_kernel_traitsILi128ELi10EfEEv18HadamardParamsBase.has_indirect_call, 0
	.section	.AMDGPU.csdata,"",@progbits
; Kernel info:
; codeLenInByte = 2100
; TotalNumSgprs: 21
; NumVgprs: 19
; ScratchSize: 0
; MemoryBound: 0
; FloatMode: 240
; IeeeMode: 1
; LDSByteSize: 0 bytes/workgroup (compile time only)
; SGPRBlocks: 2
; VGPRBlocks: 4
; NumSGPRsForWavesPerEU: 21
; NumVGPRsForWavesPerEU: 19
; Occupancy: 10
; WaveLimiterHint : 0
; COMPUTE_PGM_RSRC2:SCRATCH_EN: 0
; COMPUTE_PGM_RSRC2:USER_SGPR: 6
; COMPUTE_PGM_RSRC2:TRAP_HANDLER: 0
; COMPUTE_PGM_RSRC2:TGID_X_EN: 1
; COMPUTE_PGM_RSRC2:TGID_Y_EN: 0
; COMPUTE_PGM_RSRC2:TGID_Z_EN: 0
; COMPUTE_PGM_RSRC2:TIDIG_COMP_CNT: 0
	.section	.text._Z30fast_hadamard_transform_kernelI37fast_hadamard_transform_kernel_traitsILi256ELi11EfEEv18HadamardParamsBase,"axG",@progbits,_Z30fast_hadamard_transform_kernelI37fast_hadamard_transform_kernel_traitsILi256ELi11EfEEv18HadamardParamsBase,comdat
	.protected	_Z30fast_hadamard_transform_kernelI37fast_hadamard_transform_kernel_traitsILi256ELi11EfEEv18HadamardParamsBase ; -- Begin function _Z30fast_hadamard_transform_kernelI37fast_hadamard_transform_kernel_traitsILi256ELi11EfEEv18HadamardParamsBase
	.globl	_Z30fast_hadamard_transform_kernelI37fast_hadamard_transform_kernel_traitsILi256ELi11EfEEv18HadamardParamsBase
	.p2align	8
	.type	_Z30fast_hadamard_transform_kernelI37fast_hadamard_transform_kernel_traitsILi256ELi11EfEEv18HadamardParamsBase,@function
_Z30fast_hadamard_transform_kernelI37fast_hadamard_transform_kernel_traitsILi256ELi11EfEEv18HadamardParamsBase: ; @_Z30fast_hadamard_transform_kernelI37fast_hadamard_transform_kernel_traitsILi256ELi11EfEEv18HadamardParamsBase
; %bb.0:
	s_load_dwordx4 s[16:19], s[4:5], 0x10
	s_load_dword s8, s[4:5], 0x4
	s_load_dwordx4 s[12:15], s[4:5], 0x28
	s_ashr_i32 s7, s6, 31
	s_load_dword s9, s[4:5], 0x44
	s_waitcnt lgkmcnt(0)
	s_mul_hi_u32 s0, s16, s6
	s_mul_i32 s1, s16, s7
	s_add_i32 s0, s0, s1
	s_mul_i32 s1, s17, s6
	s_add_i32 s1, s0, s1
	s_mul_i32 s0, s16, s6
	s_lshl_b64 s[0:1], s[0:1], 2
	s_add_u32 s2, s12, s0
	v_lshlrev_b32_e32 v1, 2, v0
	s_addc_u32 s3, s13, s1
	v_cmp_gt_u32_e32 vcc, s8, v1
	v_mov_b32_e32 v1, 0
	v_lshlrev_b32_e32 v9, 4, v0
	v_mov_b32_e32 v5, 0
	v_mov_b32_e32 v6, 0
	;; [unrolled: 1-line block ×4, first 2 shown]
	s_and_saveexec_b64 s[0:1], vcc
	s_cbranch_execz .LBB8_2
; %bb.1:
	global_load_dwordx4 v[5:8], v9, s[2:3]
.LBB8_2:
	s_or_b64 exec, exec, s[0:1]
	s_and_b32 s0, 0xffff, s9
	v_add_u32_e32 v2, s0, v0
	v_lshlrev_b32_e32 v3, 2, v2
	v_cmp_gt_u32_e64 s[0:1], s8, v3
	v_lshlrev_b32_e32 v10, 4, v2
	v_mov_b32_e32 v2, 0
	v_mov_b32_e32 v3, 0
	;; [unrolled: 1-line block ×3, first 2 shown]
	s_and_saveexec_b64 s[8:9], s[0:1]
	s_cbranch_execz .LBB8_4
; %bb.3:
	global_load_dwordx4 v[1:4], v10, s[2:3]
.LBB8_4:
	s_or_b64 exec, exec, s[8:9]
	s_waitcnt vmcnt(0)
	v_add_f32_e32 v11, v5, v6
	v_sub_f32_e32 v5, v5, v6
	v_add_f32_e32 v6, v1, v2
	v_sub_f32_e32 v1, v1, v2
	;; [unrolled: 2-line block ×8, first 2 shown]
	v_mbcnt_lo_u32_b32 v3, -1, 0
	v_mbcnt_hi_u32_b32 v3, -1, v3
	v_and_b32_e32 v12, 64, v3
	v_add_u32_e32 v12, 64, v12
	v_xor_b32_e32 v13, 1, v3
	v_cmp_lt_i32_e64 s[2:3], v13, v12
	v_cndmask_b32_e64 v13, v3, v13, s[2:3]
	v_lshlrev_b32_e32 v13, 2, v13
	ds_bpermute_b32 v14, v13, v4
	v_and_b32_e32 v15, 1, v0
	v_cmp_eq_u32_e64 s[2:3], 0, v15
	v_cndmask_b32_e64 v4, -v4, v4, s[2:3]
	ds_bpermute_b32 v15, v13, v5
	s_waitcnt lgkmcnt(1)
	v_add_f32_e32 v4, v4, v14
	ds_bpermute_b32 v14, v13, v2
	v_cndmask_b32_e64 v2, -v2, v2, s[2:3]
	ds_bpermute_b32 v16, v13, v8
	v_cndmask_b32_e64 v5, -v5, v5, s[2:3]
	s_waitcnt lgkmcnt(2)
	v_add_f32_e32 v5, v5, v15
	s_waitcnt lgkmcnt(1)
	v_add_f32_e32 v2, v2, v14
	ds_bpermute_b32 v14, v13, v11
	v_cndmask_b32_e64 v11, -v11, v11, s[2:3]
	ds_bpermute_b32 v15, v13, v7
	v_cndmask_b32_e64 v8, -v8, v8, s[2:3]
	s_waitcnt lgkmcnt(2)
	v_add_f32_e32 v8, v8, v16
	;; [unrolled: 8-line block ×3, first 2 shown]
	s_waitcnt lgkmcnt(1)
	v_add_f32_e32 v6, v6, v14
	v_xor_b32_e32 v14, 2, v3
	v_cmp_lt_i32_e64 s[8:9], v14, v12
	v_cndmask_b32_e64 v14, v3, v14, s[8:9]
	v_lshlrev_b32_e32 v14, 2, v14
	ds_bpermute_b32 v15, v14, v4
	v_cndmask_b32_e64 v1, -v1, v1, s[2:3]
	s_waitcnt lgkmcnt(1)
	v_add_f32_e32 v1, v1, v16
	v_and_b32_e32 v16, 2, v0
	v_cmp_eq_u32_e64 s[8:9], 0, v16
	v_cndmask_b32_e64 v4, -v4, v4, s[8:9]
	s_waitcnt lgkmcnt(0)
	v_add_f32_e32 v4, v4, v15
	ds_bpermute_b32 v15, v14, v2
	v_cndmask_b32_e64 v2, -v2, v2, s[8:9]
	ds_bpermute_b32 v16, v14, v5
	ds_bpermute_b32 v17, v14, v8
	v_cndmask_b32_e64 v5, -v5, v5, s[8:9]
	s_waitcnt lgkmcnt(2)
	v_add_f32_e32 v2, v2, v15
	ds_bpermute_b32 v15, v14, v11
	v_cndmask_b32_e64 v11, -v11, v11, s[8:9]
	s_waitcnt lgkmcnt(2)
	v_add_f32_e32 v5, v5, v16
	;; [unrolled: 4-line block ×3, first 2 shown]
	ds_bpermute_b32 v15, v14, v6
	v_cndmask_b32_e64 v6, -v6, v6, s[8:9]
	v_add_f32_e32 v8, v8, v17
	ds_bpermute_b32 v17, v14, v1
	v_cndmask_b32_e64 v7, -v7, v7, s[8:9]
	s_waitcnt lgkmcnt(1)
	v_add_f32_e32 v6, v6, v15
	v_xor_b32_e32 v15, 4, v3
	v_cmp_lt_i32_e64 s[10:11], v15, v12
	v_cndmask_b32_e64 v15, v3, v15, s[10:11]
	v_lshlrev_b32_e32 v15, 2, v15
	v_add_f32_e32 v7, v7, v16
	ds_bpermute_b32 v16, v15, v4
	v_cndmask_b32_e64 v1, -v1, v1, s[8:9]
	s_waitcnt lgkmcnt(1)
	v_add_f32_e32 v1, v1, v17
	v_and_b32_e32 v17, 4, v0
	v_cmp_eq_u32_e64 s[10:11], 0, v17
	v_cndmask_b32_e64 v4, -v4, v4, s[10:11]
	s_waitcnt lgkmcnt(0)
	v_add_f32_e32 v4, v4, v16
	ds_bpermute_b32 v16, v15, v2
	v_cndmask_b32_e64 v2, -v2, v2, s[10:11]
	ds_bpermute_b32 v17, v15, v5
	v_cndmask_b32_e64 v5, -v5, v5, s[10:11]
	ds_bpermute_b32 v18, v15, v8
	s_waitcnt lgkmcnt(2)
	v_add_f32_e32 v2, v2, v16
	ds_bpermute_b32 v16, v15, v11
	v_cndmask_b32_e64 v11, -v11, v11, s[10:11]
	s_waitcnt lgkmcnt(2)
	v_add_f32_e32 v5, v5, v17
	ds_bpermute_b32 v17, v15, v7
	v_cndmask_b32_e64 v8, -v8, v8, s[10:11]
	s_waitcnt lgkmcnt(1)
	v_add_f32_e32 v11, v11, v16
	ds_bpermute_b32 v16, v15, v6
	ds_bpermute_b32 v15, v15, v1
	v_cndmask_b32_e64 v1, -v1, v1, s[10:11]
	v_cndmask_b32_e64 v7, -v7, v7, s[10:11]
	;; [unrolled: 1-line block ×3, first 2 shown]
	s_waitcnt lgkmcnt(1)
	v_add_f32_e32 v6, v6, v16
	s_waitcnt lgkmcnt(0)
	v_add_f32_e32 v1, v1, v15
	v_xor_b32_e32 v15, 8, v3
	v_cmp_lt_i32_e64 s[10:11], v15, v12
	v_cndmask_b32_e64 v15, v3, v15, s[10:11]
	v_lshlrev_b32_e32 v15, 2, v15
	ds_bpermute_b32 v16, v15, v4
	v_add_f32_e32 v7, v7, v17
	v_and_b32_e32 v17, 8, v0
	v_cmp_eq_u32_e64 s[10:11], 0, v17
	v_cndmask_b32_e64 v4, -v4, v4, s[10:11]
	s_waitcnt lgkmcnt(0)
	v_add_f32_e32 v4, v4, v16
	ds_bpermute_b32 v16, v15, v2
	v_cndmask_b32_e64 v2, -v2, v2, s[10:11]
	ds_bpermute_b32 v17, v15, v5
	v_add_f32_e32 v8, v8, v18
	v_cndmask_b32_e64 v5, -v5, v5, s[10:11]
	s_waitcnt lgkmcnt(1)
	v_add_f32_e32 v2, v2, v16
	ds_bpermute_b32 v16, v15, v11
	v_cndmask_b32_e64 v11, -v11, v11, s[10:11]
	ds_bpermute_b32 v18, v15, v8
	s_waitcnt lgkmcnt(2)
	v_add_f32_e32 v5, v5, v17
	ds_bpermute_b32 v17, v15, v7
	s_waitcnt lgkmcnt(2)
	v_add_f32_e32 v11, v11, v16
	ds_bpermute_b32 v16, v15, v6
	ds_bpermute_b32 v15, v15, v1
	v_cndmask_b32_e64 v1, -v1, v1, s[10:11]
	v_cndmask_b32_e64 v8, -v8, v8, s[10:11]
	v_cndmask_b32_e64 v7, -v7, v7, s[10:11]
	v_cndmask_b32_e64 v6, -v6, v6, s[10:11]
	s_waitcnt lgkmcnt(0)
	v_add_f32_e32 v1, v1, v15
	v_xor_b32_e32 v15, 16, v3
	v_cmp_lt_i32_e64 s[10:11], v15, v12
	v_cndmask_b32_e64 v15, v3, v15, s[10:11]
	v_lshlrev_b32_e32 v15, 2, v15
	v_add_f32_e32 v6, v6, v16
	ds_bpermute_b32 v16, v15, v4
	v_add_f32_e32 v7, v7, v17
	v_and_b32_e32 v17, 16, v0
	v_cmp_eq_u32_e64 s[10:11], 0, v17
	v_cndmask_b32_e64 v4, -v4, v4, s[10:11]
	s_waitcnt lgkmcnt(0)
	v_add_f32_e32 v4, v4, v16
	ds_bpermute_b32 v16, v15, v2
	v_cndmask_b32_e64 v2, -v2, v2, s[10:11]
	ds_bpermute_b32 v17, v15, v5
	v_add_f32_e32 v8, v8, v18
	v_cndmask_b32_e64 v5, -v5, v5, s[10:11]
	s_waitcnt lgkmcnt(1)
	v_add_f32_e32 v16, v2, v16
	ds_bpermute_b32 v2, v15, v11
	v_cndmask_b32_e64 v11, -v11, v11, s[10:11]
	ds_bpermute_b32 v18, v15, v8
	s_waitcnt lgkmcnt(2)
	v_add_f32_e32 v5, v5, v17
	ds_bpermute_b32 v17, v15, v7
	s_waitcnt lgkmcnt(2)
	v_add_f32_e32 v11, v11, v2
	ds_bpermute_b32 v2, v15, v6
	ds_bpermute_b32 v15, v15, v1
	v_cndmask_b32_e64 v1, -v1, v1, s[10:11]
	v_cndmask_b32_e64 v8, -v8, v8, s[10:11]
	;; [unrolled: 1-line block ×4, first 2 shown]
	s_waitcnt lgkmcnt(0)
	v_add_f32_e32 v15, v1, v15
	v_xor_b32_e32 v1, 32, v3
	v_cmp_lt_i32_e64 s[10:11], v1, v12
	v_cndmask_b32_e64 v1, v3, v1, s[10:11]
	v_add_f32_e32 v7, v7, v17
	v_add_f32_e32 v17, v6, v2
	v_lshlrev_b32_e32 v6, 2, v1
	ds_bpermute_b32 v1, v6, v4
	v_add_f32_e32 v8, v8, v18
	v_and_b32_e32 v2, 32, v0
	ds_bpermute_b32 v3, v6, v8
	v_cmp_eq_u32_e64 s[10:11], 0, v2
	v_cndmask_b32_e64 v2, -v4, v4, s[10:11]
	ds_bpermute_b32 v4, v6, v16
	s_waitcnt lgkmcnt(2)
	v_add_f32_e32 v1, v2, v1
	v_cndmask_b32_e64 v2, -v8, v8, s[10:11]
	ds_bpermute_b32 v8, v6, v5
	ds_bpermute_b32 v12, v6, v11
	s_waitcnt lgkmcnt(3)
	v_add_f32_e32 v2, v2, v3
	v_cndmask_b32_e64 v3, -v16, v16, s[10:11]
	s_waitcnt lgkmcnt(2)
	v_add_f32_e32 v3, v3, v4
	v_cndmask_b32_e64 v4, -v5, v5, s[10:11]
	s_waitcnt lgkmcnt(1)
	v_add_f32_e32 v4, v4, v8
	ds_bpermute_b32 v8, v6, v7
	v_cndmask_b32_e64 v5, -v11, v11, s[10:11]
	ds_bpermute_b32 v11, v6, v17
	s_waitcnt lgkmcnt(2)
	v_add_f32_e32 v5, v5, v12
	ds_bpermute_b32 v12, v6, v15
	v_cndmask_b32_e64 v7, -v7, v7, s[10:11]
	s_waitcnt lgkmcnt(2)
	v_add_f32_e32 v6, v7, v8
	v_cndmask_b32_e64 v7, -v17, v17, s[10:11]
	s_waitcnt lgkmcnt(1)
	v_add_f32_e32 v7, v7, v11
	v_cndmask_b32_e64 v8, -v15, v15, s[10:11]
	v_lshrrev_b32_e32 v11, 6, v0
	s_waitcnt lgkmcnt(0)
	v_add_f32_e32 v8, v8, v12
	v_and_b32_e32 v12, 3, v0
	v_lshrrev_b32_e32 v15, 2, v0
	v_xor_b32_e32 v0, v11, v0
	v_lshl_add_u32 v11, v0, 4, 0
	v_lshl_or_b32 v0, v12, 6, v15
	v_xor_b32_e32 v0, v0, v12
	s_barrier
	ds_write_b128 v11, v[1:4]
	ds_write_b128 v11, v[5:8] offset:4096
	v_lshl_add_u32 v8, v0, 4, 0
	s_waitcnt lgkmcnt(0)
	s_barrier
	ds_read_b128 v[0:3], v8
	ds_read_b128 v[4:7], v8 offset:4096
	s_load_dword s10, s[4:5], 0x20
	s_waitcnt lgkmcnt(0)
	s_barrier
	ds_bpermute_b32 v12, v13, v0
	v_cndmask_b32_e64 v0, -v0, v0, s[2:3]
	ds_bpermute_b32 v15, v13, v1
	v_cndmask_b32_e64 v1, -v1, v1, s[2:3]
	s_waitcnt lgkmcnt(0)
	v_add_f32_e32 v0, v0, v12
	ds_bpermute_b32 v12, v13, v2
	v_cndmask_b32_e64 v2, -v2, v2, s[2:3]
	v_add_f32_e32 v1, v1, v15
	ds_bpermute_b32 v15, v13, v3
	v_cndmask_b32_e64 v3, -v3, v3, s[2:3]
	s_waitcnt lgkmcnt(1)
	v_add_f32_e32 v2, v2, v12
	ds_bpermute_b32 v12, v13, v4
	v_cndmask_b32_e64 v4, -v4, v4, s[2:3]
	s_waitcnt lgkmcnt(1)
	;; [unrolled: 4-line block ×3, first 2 shown]
	v_add_f32_e32 v4, v4, v12
	ds_bpermute_b32 v12, v13, v6
	v_cndmask_b32_e64 v6, -v6, v6, s[2:3]
	ds_bpermute_b32 v13, v13, v7
	v_cndmask_b32_e64 v7, -v7, v7, s[2:3]
	s_waitcnt lgkmcnt(2)
	v_add_f32_e32 v5, v5, v15
	s_waitcnt lgkmcnt(1)
	v_add_f32_e32 v6, v6, v12
	ds_bpermute_b32 v12, v14, v0
	v_cndmask_b32_e64 v0, -v0, v0, s[8:9]
	s_waitcnt lgkmcnt(1)
	v_add_f32_e32 v7, v7, v13
	ds_bpermute_b32 v13, v14, v1
	v_cndmask_b32_e64 v1, -v1, v1, s[8:9]
	;; [unrolled: 4-line block ×6, first 2 shown]
	s_waitcnt lgkmcnt(1)
	v_add_f32_e32 v4, v4, v12
	ds_bpermute_b32 v12, v14, v6
	ds_bpermute_b32 v14, v14, v7
	v_cndmask_b32_e64 v6, -v6, v6, s[8:9]
	v_cndmask_b32_e64 v7, -v7, v7, s[8:9]
	s_waitcnt lgkmcnt(2)
	v_add_f32_e32 v5, v5, v13
	s_waitcnt lgkmcnt(1)
	v_add_f32_e32 v6, v6, v12
	;; [unrolled: 2-line block ×3, first 2 shown]
	s_mul_i32 s2, s18, s7
	s_mul_hi_u32 s3, s18, s6
	ds_write_b128 v8, v[0:3]
	ds_write_b128 v8, v[4:7] offset:4096
	s_waitcnt lgkmcnt(0)
	s_barrier
	ds_read_b128 v[0:3], v11
	ds_read_b128 v[4:7], v11 offset:4096
	s_add_i32 s2, s3, s2
	s_mul_i32 s3, s19, s6
	s_add_i32 s3, s2, s3
	s_mul_i32 s2, s18, s6
	s_lshl_b64 s[2:3], s[2:3], 2
	s_add_u32 s2, s14, s2
	s_addc_u32 s3, s15, s3
	s_and_saveexec_b64 s[4:5], vcc
	s_cbranch_execnz .LBB8_7
; %bb.5:
	s_or_b64 exec, exec, s[4:5]
	s_and_saveexec_b64 s[4:5], s[0:1]
	s_cbranch_execnz .LBB8_8
.LBB8_6:
	s_endpgm
.LBB8_7:
	s_waitcnt lgkmcnt(0)
	v_add_f32_e32 v8, v3, v7
	v_add_f32_e32 v11, v2, v6
	;; [unrolled: 1-line block ×4, first 2 shown]
	v_mul_f32_e32 v14, s10, v8
	v_mul_f32_e32 v13, s10, v11
	;; [unrolled: 1-line block ×4, first 2 shown]
	global_store_dwordx4 v9, v[11:14], s[2:3]
	s_or_b64 exec, exec, s[4:5]
	s_and_saveexec_b64 s[4:5], s[0:1]
	s_cbranch_execz .LBB8_6
.LBB8_8:
	s_waitcnt lgkmcnt(0)
	v_sub_f32_e32 v0, v0, v4
	v_sub_f32_e32 v1, v1, v5
	;; [unrolled: 1-line block ×4, first 2 shown]
	v_mul_f32_e32 v0, s10, v0
	v_mul_f32_e32 v1, s10, v1
	;; [unrolled: 1-line block ×4, first 2 shown]
	global_store_dwordx4 v10, v[0:3], s[2:3]
	s_endpgm
	.section	.rodata,"a",@progbits
	.p2align	6, 0x0
	.amdhsa_kernel _Z30fast_hadamard_transform_kernelI37fast_hadamard_transform_kernel_traitsILi256ELi11EfEEv18HadamardParamsBase
		.amdhsa_group_segment_fixed_size 0
		.amdhsa_private_segment_fixed_size 0
		.amdhsa_kernarg_size 312
		.amdhsa_user_sgpr_count 6
		.amdhsa_user_sgpr_private_segment_buffer 1
		.amdhsa_user_sgpr_dispatch_ptr 0
		.amdhsa_user_sgpr_queue_ptr 0
		.amdhsa_user_sgpr_kernarg_segment_ptr 1
		.amdhsa_user_sgpr_dispatch_id 0
		.amdhsa_user_sgpr_flat_scratch_init 0
		.amdhsa_user_sgpr_private_segment_size 0
		.amdhsa_uses_dynamic_stack 0
		.amdhsa_system_sgpr_private_segment_wavefront_offset 0
		.amdhsa_system_sgpr_workgroup_id_x 1
		.amdhsa_system_sgpr_workgroup_id_y 0
		.amdhsa_system_sgpr_workgroup_id_z 0
		.amdhsa_system_sgpr_workgroup_info 0
		.amdhsa_system_vgpr_workitem_id 0
		.amdhsa_next_free_vgpr 19
		.amdhsa_next_free_sgpr 20
		.amdhsa_reserve_vcc 1
		.amdhsa_reserve_flat_scratch 0
		.amdhsa_float_round_mode_32 0
		.amdhsa_float_round_mode_16_64 0
		.amdhsa_float_denorm_mode_32 3
		.amdhsa_float_denorm_mode_16_64 3
		.amdhsa_dx10_clamp 1
		.amdhsa_ieee_mode 1
		.amdhsa_fp16_overflow 0
		.amdhsa_exception_fp_ieee_invalid_op 0
		.amdhsa_exception_fp_denorm_src 0
		.amdhsa_exception_fp_ieee_div_zero 0
		.amdhsa_exception_fp_ieee_overflow 0
		.amdhsa_exception_fp_ieee_underflow 0
		.amdhsa_exception_fp_ieee_inexact 0
		.amdhsa_exception_int_div_zero 0
	.end_amdhsa_kernel
	.section	.text._Z30fast_hadamard_transform_kernelI37fast_hadamard_transform_kernel_traitsILi256ELi11EfEEv18HadamardParamsBase,"axG",@progbits,_Z30fast_hadamard_transform_kernelI37fast_hadamard_transform_kernel_traitsILi256ELi11EfEEv18HadamardParamsBase,comdat
.Lfunc_end8:
	.size	_Z30fast_hadamard_transform_kernelI37fast_hadamard_transform_kernel_traitsILi256ELi11EfEEv18HadamardParamsBase, .Lfunc_end8-_Z30fast_hadamard_transform_kernelI37fast_hadamard_transform_kernel_traitsILi256ELi11EfEEv18HadamardParamsBase
                                        ; -- End function
	.set _Z30fast_hadamard_transform_kernelI37fast_hadamard_transform_kernel_traitsILi256ELi11EfEEv18HadamardParamsBase.num_vgpr, 19
	.set _Z30fast_hadamard_transform_kernelI37fast_hadamard_transform_kernel_traitsILi256ELi11EfEEv18HadamardParamsBase.num_agpr, 0
	.set _Z30fast_hadamard_transform_kernelI37fast_hadamard_transform_kernel_traitsILi256ELi11EfEEv18HadamardParamsBase.numbered_sgpr, 20
	.set _Z30fast_hadamard_transform_kernelI37fast_hadamard_transform_kernel_traitsILi256ELi11EfEEv18HadamardParamsBase.num_named_barrier, 0
	.set _Z30fast_hadamard_transform_kernelI37fast_hadamard_transform_kernel_traitsILi256ELi11EfEEv18HadamardParamsBase.private_seg_size, 0
	.set _Z30fast_hadamard_transform_kernelI37fast_hadamard_transform_kernel_traitsILi256ELi11EfEEv18HadamardParamsBase.uses_vcc, 1
	.set _Z30fast_hadamard_transform_kernelI37fast_hadamard_transform_kernel_traitsILi256ELi11EfEEv18HadamardParamsBase.uses_flat_scratch, 0
	.set _Z30fast_hadamard_transform_kernelI37fast_hadamard_transform_kernel_traitsILi256ELi11EfEEv18HadamardParamsBase.has_dyn_sized_stack, 0
	.set _Z30fast_hadamard_transform_kernelI37fast_hadamard_transform_kernel_traitsILi256ELi11EfEEv18HadamardParamsBase.has_recursion, 0
	.set _Z30fast_hadamard_transform_kernelI37fast_hadamard_transform_kernel_traitsILi256ELi11EfEEv18HadamardParamsBase.has_indirect_call, 0
	.section	.AMDGPU.csdata,"",@progbits
; Kernel info:
; codeLenInByte = 2296
; TotalNumSgprs: 24
; NumVgprs: 19
; ScratchSize: 0
; MemoryBound: 0
; FloatMode: 240
; IeeeMode: 1
; LDSByteSize: 0 bytes/workgroup (compile time only)
; SGPRBlocks: 2
; VGPRBlocks: 4
; NumSGPRsForWavesPerEU: 24
; NumVGPRsForWavesPerEU: 19
; Occupancy: 10
; WaveLimiterHint : 0
; COMPUTE_PGM_RSRC2:SCRATCH_EN: 0
; COMPUTE_PGM_RSRC2:USER_SGPR: 6
; COMPUTE_PGM_RSRC2:TRAP_HANDLER: 0
; COMPUTE_PGM_RSRC2:TGID_X_EN: 1
; COMPUTE_PGM_RSRC2:TGID_Y_EN: 0
; COMPUTE_PGM_RSRC2:TGID_Z_EN: 0
; COMPUTE_PGM_RSRC2:TIDIG_COMP_CNT: 0
	.section	.text._Z30fast_hadamard_transform_kernelI37fast_hadamard_transform_kernel_traitsILi256ELi12EfEEv18HadamardParamsBase,"axG",@progbits,_Z30fast_hadamard_transform_kernelI37fast_hadamard_transform_kernel_traitsILi256ELi12EfEEv18HadamardParamsBase,comdat
	.protected	_Z30fast_hadamard_transform_kernelI37fast_hadamard_transform_kernel_traitsILi256ELi12EfEEv18HadamardParamsBase ; -- Begin function _Z30fast_hadamard_transform_kernelI37fast_hadamard_transform_kernel_traitsILi256ELi12EfEEv18HadamardParamsBase
	.globl	_Z30fast_hadamard_transform_kernelI37fast_hadamard_transform_kernel_traitsILi256ELi12EfEEv18HadamardParamsBase
	.p2align	8
	.type	_Z30fast_hadamard_transform_kernelI37fast_hadamard_transform_kernel_traitsILi256ELi12EfEEv18HadamardParamsBase,@function
_Z30fast_hadamard_transform_kernelI37fast_hadamard_transform_kernel_traitsILi256ELi12EfEEv18HadamardParamsBase: ; @_Z30fast_hadamard_transform_kernelI37fast_hadamard_transform_kernel_traitsILi256ELi12EfEEv18HadamardParamsBase
; %bb.0:
	s_load_dwordx4 s[20:23], s[4:5], 0x10
	s_load_dword s12, s[4:5], 0x4
	s_load_dwordx4 s[16:19], s[4:5], 0x28
	s_ashr_i32 s7, s6, 31
	s_load_dword s2, s[4:5], 0x44
	s_waitcnt lgkmcnt(0)
	s_mul_hi_u32 s0, s20, s6
	s_mul_i32 s1, s20, s7
	s_add_i32 s0, s0, s1
	s_mul_i32 s1, s21, s6
	s_add_i32 s1, s0, s1
	s_mul_i32 s0, s20, s6
	s_lshl_b64 s[0:1], s[0:1], 2
	s_add_u32 s8, s16, s0
	v_lshlrev_b32_e32 v1, 2, v0
	s_addc_u32 s9, s17, s1
	v_cmp_gt_u32_e32 vcc, s12, v1
	v_mov_b32_e32 v1, 0
	v_lshlrev_b32_e32 v17, 4, v0
	v_mov_b32_e32 v5, 0
	v_mov_b32_e32 v6, 0
	;; [unrolled: 1-line block ×4, first 2 shown]
	s_and_saveexec_b64 s[0:1], vcc
	s_cbranch_execz .LBB9_2
; %bb.1:
	global_load_dwordx4 v[5:8], v17, s[8:9]
.LBB9_2:
	s_or_b64 exec, exec, s[0:1]
	s_and_b32 s13, 0xffff, s2
	v_add_u32_e32 v9, s13, v0
	v_lshlrev_b32_e32 v2, 2, v9
	v_cmp_gt_u32_e64 s[0:1], s12, v2
	v_lshlrev_b32_e32 v18, 4, v9
	v_mov_b32_e32 v2, 0
	v_mov_b32_e32 v3, 0
	;; [unrolled: 1-line block ×3, first 2 shown]
	s_and_saveexec_b64 s[2:3], s[0:1]
	s_cbranch_execz .LBB9_4
; %bb.3:
	global_load_dwordx4 v[1:4], v18, s[8:9]
.LBB9_4:
	s_or_b64 exec, exec, s[2:3]
	v_add_u32_e32 v10, s13, v9
	v_lshlrev_b32_e32 v9, 2, v10
	v_cmp_gt_u32_e64 s[2:3], s12, v9
	v_mov_b32_e32 v9, 0
	v_lshlrev_b32_e32 v19, 4, v10
	v_mov_b32_e32 v13, 0
	v_mov_b32_e32 v14, 0
	;; [unrolled: 1-line block ×4, first 2 shown]
	s_and_saveexec_b64 s[10:11], s[2:3]
	s_cbranch_execz .LBB9_6
; %bb.5:
	global_load_dwordx4 v[13:16], v19, s[8:9]
.LBB9_6:
	s_or_b64 exec, exec, s[10:11]
	v_add_u32_e32 v10, s13, v10
	v_lshlrev_b32_e32 v11, 2, v10
	v_cmp_gt_u32_e64 s[14:15], s12, v11
	v_lshlrev_b32_e32 v20, 4, v10
	v_mov_b32_e32 v10, 0
	v_mov_b32_e32 v11, 0
	;; [unrolled: 1-line block ×3, first 2 shown]
	s_and_saveexec_b64 s[10:11], s[14:15]
	s_cbranch_execz .LBB9_8
; %bb.7:
	global_load_dwordx4 v[9:12], v20, s[8:9]
.LBB9_8:
	s_or_b64 exec, exec, s[10:11]
	s_waitcnt vmcnt(0)
	v_add_f32_e32 v21, v5, v6
	v_sub_f32_e32 v5, v5, v6
	v_add_f32_e32 v6, v1, v2
	v_sub_f32_e32 v1, v1, v2
	v_add_f32_e32 v2, v13, v14
	v_sub_f32_e32 v13, v13, v14
	v_add_f32_e32 v14, v9, v10
	v_sub_f32_e32 v9, v9, v10
	v_add_f32_e32 v10, v7, v8
	v_sub_f32_e32 v7, v7, v8
	v_add_f32_e32 v8, v3, v4
	v_sub_f32_e32 v3, v3, v4
	v_add_f32_e32 v4, v15, v16
	v_sub_f32_e32 v15, v15, v16
	v_add_f32_e32 v16, v11, v12
	v_add_f32_e32 v22, v14, v16
	v_sub_f32_e32 v14, v14, v16
	v_add_f32_e32 v16, v5, v7
	v_sub_f32_e32 v5, v5, v7
	;; [unrolled: 2-line block ×3, first 2 shown]
	v_mbcnt_lo_u32_b32 v1, -1, 0
	v_mbcnt_hi_u32_b32 v3, -1, v1
	v_and_b32_e32 v1, 64, v3
	v_sub_f32_e32 v11, v11, v12
	v_add_f32_e32 v12, v21, v10
	v_sub_f32_e32 v10, v21, v10
	v_add_f32_e32 v21, v6, v8
	;; [unrolled: 2-line block ×3, first 2 shown]
	v_sub_f32_e32 v2, v2, v4
	v_add_u32_e32 v4, 64, v1
	v_xor_b32_e32 v1, 1, v3
	v_cmp_lt_i32_e64 s[8:9], v1, v4
	v_cndmask_b32_e64 v1, v3, v1, s[8:9]
	v_lshlrev_b32_e32 v1, 2, v1
	v_add_f32_e32 v24, v13, v15
	v_sub_f32_e32 v13, v13, v15
	v_add_f32_e32 v15, v9, v11
	v_sub_f32_e32 v9, v9, v11
	ds_bpermute_b32 v11, v1, v12
	v_and_b32_e32 v25, 1, v0
	v_cmp_eq_u32_e64 s[8:9], 0, v25
	v_cndmask_b32_e64 v12, -v12, v12, s[8:9]
	ds_bpermute_b32 v25, v1, v5
	s_waitcnt lgkmcnt(1)
	v_add_f32_e32 v11, v12, v11
	ds_bpermute_b32 v12, v1, v10
	v_cndmask_b32_e64 v10, -v10, v10, s[8:9]
	v_cndmask_b32_e64 v5, -v5, v5, s[8:9]
	s_waitcnt lgkmcnt(1)
	v_add_f32_e32 v5, v5, v25
	ds_bpermute_b32 v25, v1, v7
	s_waitcnt lgkmcnt(1)
	v_add_f32_e32 v10, v10, v12
	ds_bpermute_b32 v12, v1, v21
	v_cndmask_b32_e64 v21, -v21, v21, s[8:9]
	v_cndmask_b32_e64 v7, -v7, v7, s[8:9]
	s_waitcnt lgkmcnt(1)
	v_add_f32_e32 v7, v7, v25
	;; [unrolled: 8-line block ×3, first 2 shown]
	ds_bpermute_b32 v25, v1, v24
	s_waitcnt lgkmcnt(1)
	v_add_f32_e32 v6, v6, v21
	ds_bpermute_b32 v21, v1, v8
	v_cndmask_b32_e64 v8, -v8, v8, s[8:9]
	ds_bpermute_b32 v26, v1, v16
	v_cndmask_b32_e64 v24, -v24, v24, s[8:9]
	v_cndmask_b32_e64 v16, -v16, v16, s[8:9]
	s_waitcnt lgkmcnt(1)
	v_add_f32_e32 v8, v8, v21
	ds_bpermute_b32 v21, v1, v2
	v_cndmask_b32_e64 v2, -v2, v2, s[8:9]
	v_add_f32_e32 v24, v24, v25
	ds_bpermute_b32 v25, v1, v13
	s_waitcnt lgkmcnt(2)
	v_add_f32_e32 v16, v16, v26
	s_waitcnt lgkmcnt(1)
	v_add_f32_e32 v21, v2, v21
	ds_bpermute_b32 v2, v1, v22
	v_cndmask_b32_e64 v22, -v22, v22, s[8:9]
	ds_bpermute_b32 v26, v1, v9
	v_cndmask_b32_e64 v13, -v13, v13, s[8:9]
	s_waitcnt lgkmcnt(2)
	v_add_f32_e32 v13, v13, v25
	s_waitcnt lgkmcnt(1)
	v_add_f32_e32 v22, v22, v2
	ds_bpermute_b32 v2, v1, v14
	v_cndmask_b32_e64 v14, -v14, v14, s[8:9]
	ds_bpermute_b32 v25, v1, v15
	v_cndmask_b32_e64 v15, -v15, v15, s[8:9]
	s_waitcnt lgkmcnt(0)
	v_add_f32_e32 v14, v14, v2
	v_cndmask_b32_e64 v2, -v9, v9, s[8:9]
	v_add_f32_e32 v9, v2, v26
	v_xor_b32_e32 v2, 2, v3
	v_cmp_lt_i32_e64 s[10:11], v2, v4
	v_cndmask_b32_e64 v2, v3, v2, s[10:11]
	v_lshlrev_b32_e32 v2, 2, v2
	v_add_f32_e32 v15, v15, v25
	ds_bpermute_b32 v25, v2, v11
	v_and_b32_e32 v26, 2, v0
	v_cmp_eq_u32_e64 s[10:11], 0, v26
	v_cndmask_b32_e64 v11, -v11, v11, s[10:11]
	ds_bpermute_b32 v26, v2, v5
	s_waitcnt lgkmcnt(1)
	v_add_f32_e32 v11, v11, v25
	ds_bpermute_b32 v25, v2, v10
	v_cndmask_b32_e64 v10, -v10, v10, s[10:11]
	v_cndmask_b32_e64 v5, -v5, v5, s[10:11]
	s_waitcnt lgkmcnt(1)
	v_add_f32_e32 v5, v5, v26
	ds_bpermute_b32 v26, v2, v7
	s_waitcnt lgkmcnt(1)
	v_add_f32_e32 v10, v10, v25
	ds_bpermute_b32 v25, v2, v12
	v_cndmask_b32_e64 v12, -v12, v12, s[10:11]
	v_cndmask_b32_e64 v7, -v7, v7, s[10:11]
	s_waitcnt lgkmcnt(1)
	v_add_f32_e32 v7, v7, v26
	;; [unrolled: 8-line block ×4, first 2 shown]
	ds_bpermute_b32 v26, v2, v13
	s_waitcnt lgkmcnt(1)
	v_add_f32_e32 v8, v8, v25
	ds_bpermute_b32 v25, v2, v21
	v_cndmask_b32_e64 v21, -v21, v21, s[10:11]
	ds_bpermute_b32 v27, v2, v16
	v_cndmask_b32_e64 v13, -v13, v13, s[10:11]
	s_waitcnt lgkmcnt(2)
	v_add_f32_e32 v13, v13, v26
	s_waitcnt lgkmcnt(1)
	v_add_f32_e32 v21, v21, v25
	ds_bpermute_b32 v25, v2, v22
	v_cndmask_b32_e64 v22, -v22, v22, s[10:11]
	ds_bpermute_b32 v26, v2, v15
	v_cndmask_b32_e64 v16, -v16, v16, s[10:11]
	s_waitcnt lgkmcnt(2)
	v_add_f32_e32 v16, v16, v27
	;; [unrolled: 8-line block ×3, first 2 shown]
	s_waitcnt lgkmcnt(1)
	v_add_f32_e32 v14, v14, v25
	v_xor_b32_e32 v25, 4, v3
	v_cmp_lt_i32_e64 s[12:13], v25, v4
	v_cndmask_b32_e64 v25, v3, v25, s[12:13]
	v_lshlrev_b32_e32 v25, 2, v25
	ds_bpermute_b32 v26, v25, v11
	v_cndmask_b32_e64 v9, -v9, v9, s[10:11]
	s_waitcnt lgkmcnt(1)
	v_add_f32_e32 v9, v9, v27
	v_and_b32_e32 v27, 4, v0
	v_cmp_eq_u32_e64 s[12:13], 0, v27
	v_cndmask_b32_e64 v11, -v11, v11, s[12:13]
	s_waitcnt lgkmcnt(0)
	v_add_f32_e32 v11, v11, v26
	ds_bpermute_b32 v26, v25, v10
	v_cndmask_b32_e64 v10, -v10, v10, s[12:13]
	ds_bpermute_b32 v27, v25, v5
	v_cndmask_b32_e64 v5, -v5, v5, s[12:13]
	ds_bpermute_b32 v28, v25, v16
	s_waitcnt lgkmcnt(2)
	v_add_f32_e32 v10, v10, v26
	ds_bpermute_b32 v26, v25, v12
	v_cndmask_b32_e64 v12, -v12, v12, s[12:13]
	s_waitcnt lgkmcnt(2)
	v_add_f32_e32 v5, v5, v27
	ds_bpermute_b32 v27, v25, v7
	v_cndmask_b32_e64 v7, -v7, v7, s[12:13]
	;; [unrolled: 4-line block ×10, first 2 shown]
	s_waitcnt lgkmcnt(1)
	v_add_f32_e32 v22, v22, v26
	ds_bpermute_b32 v26, v25, v14
	ds_bpermute_b32 v25, v25, v9
	v_cndmask_b32_e64 v9, -v9, v9, s[12:13]
	v_cndmask_b32_e64 v15, -v15, v15, s[12:13]
	;; [unrolled: 1-line block ×3, first 2 shown]
	s_waitcnt lgkmcnt(1)
	v_add_f32_e32 v14, v14, v26
	s_waitcnt lgkmcnt(0)
	v_add_f32_e32 v9, v9, v25
	v_xor_b32_e32 v25, 8, v3
	v_cmp_lt_i32_e64 s[12:13], v25, v4
	v_cndmask_b32_e64 v25, v3, v25, s[12:13]
	v_lshlrev_b32_e32 v25, 2, v25
	ds_bpermute_b32 v26, v25, v11
	v_add_f32_e32 v15, v15, v27
	v_and_b32_e32 v27, 8, v0
	v_cmp_eq_u32_e64 s[12:13], 0, v27
	v_cndmask_b32_e64 v11, -v11, v11, s[12:13]
	s_waitcnt lgkmcnt(0)
	v_add_f32_e32 v11, v11, v26
	ds_bpermute_b32 v26, v25, v10
	v_cndmask_b32_e64 v10, -v10, v10, s[12:13]
	ds_bpermute_b32 v27, v25, v5
	v_cndmask_b32_e64 v5, -v5, v5, s[12:13]
	v_add_f32_e32 v16, v16, v28
	s_waitcnt lgkmcnt(1)
	v_add_f32_e32 v10, v10, v26
	ds_bpermute_b32 v26, v25, v12
	v_cndmask_b32_e64 v12, -v12, v12, s[12:13]
	s_waitcnt lgkmcnt(1)
	v_add_f32_e32 v5, v5, v27
	ds_bpermute_b32 v27, v25, v7
	v_cndmask_b32_e64 v7, -v7, v7, s[12:13]
	;; [unrolled: 4-line block ×9, first 2 shown]
	ds_bpermute_b32 v28, v25, v16
	s_waitcnt lgkmcnt(2)
	v_add_f32_e32 v13, v13, v27
	ds_bpermute_b32 v27, v25, v15
	s_waitcnt lgkmcnt(2)
	v_add_f32_e32 v22, v22, v26
	ds_bpermute_b32 v26, v25, v14
	ds_bpermute_b32 v25, v25, v9
	v_cndmask_b32_e64 v9, -v9, v9, s[12:13]
	v_cndmask_b32_e64 v16, -v16, v16, s[12:13]
	;; [unrolled: 1-line block ×4, first 2 shown]
	s_waitcnt lgkmcnt(0)
	v_add_f32_e32 v9, v9, v25
	v_xor_b32_e32 v25, 16, v3
	v_cmp_lt_i32_e64 s[12:13], v25, v4
	v_cndmask_b32_e64 v25, v3, v25, s[12:13]
	v_lshlrev_b32_e32 v25, 2, v25
	v_add_f32_e32 v14, v14, v26
	ds_bpermute_b32 v26, v25, v11
	v_add_f32_e32 v15, v15, v27
	v_and_b32_e32 v27, 16, v0
	v_cmp_eq_u32_e64 s[12:13], 0, v27
	v_cndmask_b32_e64 v11, -v11, v11, s[12:13]
	s_waitcnt lgkmcnt(0)
	v_add_f32_e32 v11, v11, v26
	ds_bpermute_b32 v26, v25, v10
	ds_bpermute_b32 v27, v25, v5
	v_cndmask_b32_e64 v10, -v10, v10, s[12:13]
	v_add_f32_e32 v16, v16, v28
	v_cndmask_b32_e64 v5, -v5, v5, s[12:13]
	s_waitcnt lgkmcnt(1)
	v_add_f32_e32 v10, v10, v26
	ds_bpermute_b32 v26, v25, v12
	ds_bpermute_b32 v28, v25, v16
	s_waitcnt lgkmcnt(2)
	v_add_f32_e32 v27, v5, v27
	ds_bpermute_b32 v5, v25, v7
	v_cndmask_b32_e64 v12, -v12, v12, s[12:13]
	s_waitcnt lgkmcnt(2)
	v_add_f32_e32 v12, v12, v26
	ds_bpermute_b32 v26, v25, v6
	v_cndmask_b32_e64 v16, -v16, v16, s[12:13]
	v_cndmask_b32_e64 v7, -v7, v7, s[12:13]
	s_waitcnt lgkmcnt(2)
	v_add_f32_e32 v16, v16, v28
	s_waitcnt lgkmcnt(1)
	v_add_f32_e32 v28, v7, v5
	ds_bpermute_b32 v5, v25, v23
	v_cndmask_b32_e64 v6, -v6, v6, s[12:13]
	s_waitcnt lgkmcnt(1)
	v_add_f32_e32 v26, v6, v26
	ds_bpermute_b32 v6, v25, v8
	v_cndmask_b32_e64 v7, -v23, v23, s[12:13]
	;; [unrolled: 4-line block ×6, first 2 shown]
	s_waitcnt lgkmcnt(1)
	v_add_f32_e32 v30, v7, v5
	v_cndmask_b32_e64 v5, -v22, v22, s[12:13]
	ds_bpermute_b32 v7, v25, v15
	s_waitcnt lgkmcnt(1)
	v_add_f32_e32 v22, v5, v6
	ds_bpermute_b32 v5, v25, v14
	ds_bpermute_b32 v8, v25, v9
	v_cndmask_b32_e64 v6, -v15, v15, s[12:13]
	s_waitcnt lgkmcnt(2)
	v_add_f32_e32 v15, v6, v7
	v_cndmask_b32_e64 v6, -v14, v14, s[12:13]
	s_waitcnt lgkmcnt(1)
	v_add_f32_e32 v25, v6, v5
	v_cndmask_b32_e64 v5, -v9, v9, s[12:13]
	s_waitcnt lgkmcnt(0)
	v_add_f32_e32 v31, v5, v8
	v_xor_b32_e32 v5, 32, v3
	v_cmp_lt_i32_e64 s[12:13], v5, v4
	v_cndmask_b32_e64 v3, v3, v5, s[12:13]
	v_lshlrev_b32_e32 v32, 2, v3
	ds_bpermute_b32 v3, v32, v11
	ds_bpermute_b32 v5, v32, v16
	v_and_b32_e32 v4, 32, v0
	ds_bpermute_b32 v6, v32, v10
	v_cmp_eq_u32_e64 s[12:13], 0, v4
	ds_bpermute_b32 v7, v32, v27
	v_cndmask_b32_e64 v4, -v11, v11, s[12:13]
	ds_bpermute_b32 v8, v32, v12
	s_waitcnt lgkmcnt(4)
	v_add_f32_e32 v3, v4, v3
	v_cndmask_b32_e64 v4, -v16, v16, s[12:13]
	ds_bpermute_b32 v9, v32, v28
	s_waitcnt lgkmcnt(4)
	v_add_f32_e32 v4, v4, v5
	;; [unrolled: 4-line block ×6, first 2 shown]
	v_cndmask_b32_e64 v9, -v26, v26, s[12:13]
	s_waitcnt lgkmcnt(3)
	v_add_f32_e32 v9, v9, v10
	v_cndmask_b32_e64 v10, -v23, v23, s[12:13]
	s_waitcnt lgkmcnt(2)
	v_add_f32_e32 v10, v10, v11
	v_cndmask_b32_e64 v11, -v29, v29, s[12:13]
	ds_bpermute_b32 v14, v32, v21
	s_waitcnt lgkmcnt(2)
	v_add_f32_e32 v11, v11, v12
	v_cndmask_b32_e64 v12, -v24, v24, s[12:13]
	ds_bpermute_b32 v16, v32, v30
	;; [unrolled: 4-line block ×3, first 2 shown]
	s_waitcnt lgkmcnt(2)
	v_add_f32_e32 v13, v13, v14
	v_cndmask_b32_e64 v14, -v30, v30, s[12:13]
	s_waitcnt lgkmcnt(1)
	v_add_f32_e32 v14, v14, v16
	v_cndmask_b32_e64 v16, -v22, v22, s[12:13]
	ds_bpermute_b32 v22, v32, v15
	s_waitcnt lgkmcnt(1)
	v_add_f32_e32 v21, v16, v21
	ds_bpermute_b32 v16, v32, v25
	ds_bpermute_b32 v24, v32, v31
	v_cndmask_b32_e64 v15, -v15, v15, s[12:13]
	s_waitcnt lgkmcnt(2)
	v_add_f32_e32 v22, v15, v22
	v_cndmask_b32_e64 v15, -v25, v25, s[12:13]
	s_waitcnt lgkmcnt(1)
	v_add_f32_e32 v23, v15, v16
	;; [unrolled: 3-line block ×3, first 2 shown]
	v_lshrrev_b32_e32 v15, 6, v0
	v_and_b32_e32 v16, 3, v0
	v_lshrrev_b32_e32 v25, 2, v0
	v_xor_b32_e32 v0, v15, v0
	v_lshl_add_u32 v15, v0, 4, 0
	v_lshl_or_b32 v0, v16, 6, v25
	v_xor_b32_e32 v0, v0, v16
	v_lshl_add_u32 v0, v0, 4, 0
	s_barrier
	ds_write_b128 v15, v[3:6]
	ds_write_b128 v15, v[7:10] offset:4096
	ds_write_b128 v15, v[11:14] offset:8192
	;; [unrolled: 1-line block ×3, first 2 shown]
	s_waitcnt lgkmcnt(0)
	s_barrier
	ds_read_b128 v[3:6], v0
	ds_read_b128 v[7:10], v0 offset:4096
	ds_read_b128 v[11:14], v0 offset:8192
	;; [unrolled: 1-line block ×3, first 2 shown]
	s_waitcnt lgkmcnt(0)
	s_barrier
	ds_bpermute_b32 v16, v1, v3
	v_cndmask_b32_e64 v3, -v3, v3, s[8:9]
	ds_bpermute_b32 v25, v1, v4
	v_cndmask_b32_e64 v4, -v4, v4, s[8:9]
	s_waitcnt lgkmcnt(0)
	v_add_f32_e32 v3, v3, v16
	ds_bpermute_b32 v16, v1, v5
	v_cndmask_b32_e64 v5, -v5, v5, s[8:9]
	v_add_f32_e32 v4, v4, v25
	ds_bpermute_b32 v25, v1, v6
	v_cndmask_b32_e64 v6, -v6, v6, s[8:9]
	s_waitcnt lgkmcnt(1)
	v_add_f32_e32 v5, v5, v16
	ds_bpermute_b32 v16, v1, v7
	v_cndmask_b32_e64 v7, -v7, v7, s[8:9]
	s_waitcnt lgkmcnt(1)
	;; [unrolled: 4-line block ×11, first 2 shown]
	v_add_f32_e32 v16, v21, v16
	ds_bpermute_b32 v21, v1, v23
	v_cndmask_b32_e64 v23, -v23, v23, s[8:9]
	ds_bpermute_b32 v1, v1, v24
	v_cndmask_b32_e64 v24, -v24, v24, s[8:9]
	s_waitcnt lgkmcnt(2)
	v_add_f32_e32 v22, v22, v25
	s_waitcnt lgkmcnt(1)
	v_add_f32_e32 v23, v23, v21
	ds_bpermute_b32 v21, v2, v3
	v_cndmask_b32_e64 v3, -v3, v3, s[10:11]
	s_waitcnt lgkmcnt(1)
	v_add_f32_e32 v1, v24, v1
	ds_bpermute_b32 v24, v2, v4
	v_cndmask_b32_e64 v4, -v4, v4, s[10:11]
	;; [unrolled: 4-line block ×14, first 2 shown]
	s_waitcnt lgkmcnt(1)
	v_add_f32_e32 v21, v16, v21
	ds_bpermute_b32 v16, v2, v23
	ds_bpermute_b32 v2, v2, v1
	v_cndmask_b32_e64 v23, -v23, v23, s[10:11]
	v_cndmask_b32_e64 v1, -v1, v1, s[10:11]
	s_waitcnt lgkmcnt(2)
	v_add_f32_e32 v22, v22, v24
	s_waitcnt lgkmcnt(1)
	v_add_f32_e32 v23, v23, v16
	;; [unrolled: 2-line block ×3, first 2 shown]
	ds_write_b128 v0, v[3:6]
	ds_write_b128 v0, v[7:10] offset:4096
	ds_write_b128 v0, v[11:14] offset:8192
	;; [unrolled: 1-line block ×3, first 2 shown]
	s_waitcnt lgkmcnt(0)
	s_barrier
	ds_read_b128 v[0:3], v15
	ds_read_b128 v[8:11], v15 offset:4096
	s_load_dword s8, s[4:5], 0x20
	ds_read_b128 v[4:7], v15 offset:8192
	ds_read_b128 v[12:15], v15 offset:12288
	s_mul_i32 s4, s22, s7
	s_mul_hi_u32 s5, s22, s6
	s_add_i32 s4, s5, s4
	s_mul_i32 s5, s23, s6
	s_add_i32 s5, s4, s5
	s_mul_i32 s4, s22, s6
	s_lshl_b64 s[4:5], s[4:5], 2
	s_add_u32 s4, s18, s4
	s_waitcnt lgkmcnt(0)
	v_add_f32_e32 v16, v0, v8
	v_add_f32_e32 v21, v1, v9
	;; [unrolled: 1-line block ×8, first 2 shown]
	s_addc_u32 s5, s19, s5
	s_and_saveexec_b64 s[6:7], vcc
	s_cbranch_execz .LBB9_10
; %bb.9:
	v_add_f32_e32 v28, v23, v27
	v_add_f32_e32 v29, v22, v26
	v_add_f32_e32 v32, v21, v25
	v_add_f32_e32 v33, v16, v24
	v_mul_f32_e32 v31, s8, v28
	v_mul_f32_e32 v30, s8, v29
	;; [unrolled: 1-line block ×4, first 2 shown]
	global_store_dwordx4 v17, v[28:31], s[4:5]
.LBB9_10:
	s_or_b64 exec, exec, s[6:7]
	v_sub_f32_e32 v0, v0, v8
	v_sub_f32_e32 v1, v1, v9
	;; [unrolled: 1-line block ×8, first 2 shown]
	s_and_saveexec_b64 s[6:7], s[0:1]
	s_cbranch_execnz .LBB9_14
; %bb.11:
	s_or_b64 exec, exec, s[6:7]
	s_and_saveexec_b64 s[0:1], s[2:3]
	s_cbranch_execnz .LBB9_15
.LBB9_12:
	s_or_b64 exec, exec, s[0:1]
	s_and_saveexec_b64 s[0:1], s[14:15]
	s_cbranch_execnz .LBB9_16
.LBB9_13:
	s_endpgm
.LBB9_14:
	v_add_f32_e32 v8, v0, v4
	v_add_f32_e32 v9, v1, v5
	;; [unrolled: 1-line block ×4, first 2 shown]
	v_mul_f32_e32 v8, s8, v8
	v_mul_f32_e32 v9, s8, v9
	;; [unrolled: 1-line block ×4, first 2 shown]
	global_store_dwordx4 v18, v[8:11], s[4:5]
	s_or_b64 exec, exec, s[6:7]
	s_and_saveexec_b64 s[0:1], s[2:3]
	s_cbranch_execz .LBB9_12
.LBB9_15:
	v_sub_f32_e32 v8, v16, v24
	v_sub_f32_e32 v9, v21, v25
	;; [unrolled: 1-line block ×4, first 2 shown]
	v_mul_f32_e32 v8, s8, v8
	v_mul_f32_e32 v9, s8, v9
	;; [unrolled: 1-line block ×4, first 2 shown]
	global_store_dwordx4 v19, v[8:11], s[4:5]
	s_or_b64 exec, exec, s[0:1]
	s_and_saveexec_b64 s[0:1], s[14:15]
	s_cbranch_execz .LBB9_13
.LBB9_16:
	v_sub_f32_e32 v0, v0, v4
	v_sub_f32_e32 v1, v1, v5
	;; [unrolled: 1-line block ×4, first 2 shown]
	v_mul_f32_e32 v0, s8, v0
	v_mul_f32_e32 v1, s8, v1
	;; [unrolled: 1-line block ×4, first 2 shown]
	global_store_dwordx4 v20, v[0:3], s[4:5]
	s_endpgm
	.section	.rodata,"a",@progbits
	.p2align	6, 0x0
	.amdhsa_kernel _Z30fast_hadamard_transform_kernelI37fast_hadamard_transform_kernel_traitsILi256ELi12EfEEv18HadamardParamsBase
		.amdhsa_group_segment_fixed_size 0
		.amdhsa_private_segment_fixed_size 0
		.amdhsa_kernarg_size 312
		.amdhsa_user_sgpr_count 6
		.amdhsa_user_sgpr_private_segment_buffer 1
		.amdhsa_user_sgpr_dispatch_ptr 0
		.amdhsa_user_sgpr_queue_ptr 0
		.amdhsa_user_sgpr_kernarg_segment_ptr 1
		.amdhsa_user_sgpr_dispatch_id 0
		.amdhsa_user_sgpr_flat_scratch_init 0
		.amdhsa_user_sgpr_private_segment_size 0
		.amdhsa_uses_dynamic_stack 0
		.amdhsa_system_sgpr_private_segment_wavefront_offset 0
		.amdhsa_system_sgpr_workgroup_id_x 1
		.amdhsa_system_sgpr_workgroup_id_y 0
		.amdhsa_system_sgpr_workgroup_id_z 0
		.amdhsa_system_sgpr_workgroup_info 0
		.amdhsa_system_vgpr_workitem_id 0
		.amdhsa_next_free_vgpr 34
		.amdhsa_next_free_sgpr 24
		.amdhsa_reserve_vcc 1
		.amdhsa_reserve_flat_scratch 0
		.amdhsa_float_round_mode_32 0
		.amdhsa_float_round_mode_16_64 0
		.amdhsa_float_denorm_mode_32 3
		.amdhsa_float_denorm_mode_16_64 3
		.amdhsa_dx10_clamp 1
		.amdhsa_ieee_mode 1
		.amdhsa_fp16_overflow 0
		.amdhsa_exception_fp_ieee_invalid_op 0
		.amdhsa_exception_fp_denorm_src 0
		.amdhsa_exception_fp_ieee_div_zero 0
		.amdhsa_exception_fp_ieee_overflow 0
		.amdhsa_exception_fp_ieee_underflow 0
		.amdhsa_exception_fp_ieee_inexact 0
		.amdhsa_exception_int_div_zero 0
	.end_amdhsa_kernel
	.section	.text._Z30fast_hadamard_transform_kernelI37fast_hadamard_transform_kernel_traitsILi256ELi12EfEEv18HadamardParamsBase,"axG",@progbits,_Z30fast_hadamard_transform_kernelI37fast_hadamard_transform_kernel_traitsILi256ELi12EfEEv18HadamardParamsBase,comdat
.Lfunc_end9:
	.size	_Z30fast_hadamard_transform_kernelI37fast_hadamard_transform_kernel_traitsILi256ELi12EfEEv18HadamardParamsBase, .Lfunc_end9-_Z30fast_hadamard_transform_kernelI37fast_hadamard_transform_kernel_traitsILi256ELi12EfEEv18HadamardParamsBase
                                        ; -- End function
	.set _Z30fast_hadamard_transform_kernelI37fast_hadamard_transform_kernel_traitsILi256ELi12EfEEv18HadamardParamsBase.num_vgpr, 34
	.set _Z30fast_hadamard_transform_kernelI37fast_hadamard_transform_kernel_traitsILi256ELi12EfEEv18HadamardParamsBase.num_agpr, 0
	.set _Z30fast_hadamard_transform_kernelI37fast_hadamard_transform_kernel_traitsILi256ELi12EfEEv18HadamardParamsBase.numbered_sgpr, 24
	.set _Z30fast_hadamard_transform_kernelI37fast_hadamard_transform_kernel_traitsILi256ELi12EfEEv18HadamardParamsBase.num_named_barrier, 0
	.set _Z30fast_hadamard_transform_kernelI37fast_hadamard_transform_kernel_traitsILi256ELi12EfEEv18HadamardParamsBase.private_seg_size, 0
	.set _Z30fast_hadamard_transform_kernelI37fast_hadamard_transform_kernel_traitsILi256ELi12EfEEv18HadamardParamsBase.uses_vcc, 1
	.set _Z30fast_hadamard_transform_kernelI37fast_hadamard_transform_kernel_traitsILi256ELi12EfEEv18HadamardParamsBase.uses_flat_scratch, 0
	.set _Z30fast_hadamard_transform_kernelI37fast_hadamard_transform_kernel_traitsILi256ELi12EfEEv18HadamardParamsBase.has_dyn_sized_stack, 0
	.set _Z30fast_hadamard_transform_kernelI37fast_hadamard_transform_kernel_traitsILi256ELi12EfEEv18HadamardParamsBase.has_recursion, 0
	.set _Z30fast_hadamard_transform_kernelI37fast_hadamard_transform_kernel_traitsILi256ELi12EfEEv18HadamardParamsBase.has_indirect_call, 0
	.section	.AMDGPU.csdata,"",@progbits
; Kernel info:
; codeLenInByte = 4256
; TotalNumSgprs: 28
; NumVgprs: 34
; ScratchSize: 0
; MemoryBound: 0
; FloatMode: 240
; IeeeMode: 1
; LDSByteSize: 0 bytes/workgroup (compile time only)
; SGPRBlocks: 3
; VGPRBlocks: 8
; NumSGPRsForWavesPerEU: 28
; NumVGPRsForWavesPerEU: 34
; Occupancy: 7
; WaveLimiterHint : 0
; COMPUTE_PGM_RSRC2:SCRATCH_EN: 0
; COMPUTE_PGM_RSRC2:USER_SGPR: 6
; COMPUTE_PGM_RSRC2:TRAP_HANDLER: 0
; COMPUTE_PGM_RSRC2:TGID_X_EN: 1
; COMPUTE_PGM_RSRC2:TGID_Y_EN: 0
; COMPUTE_PGM_RSRC2:TGID_Z_EN: 0
; COMPUTE_PGM_RSRC2:TIDIG_COMP_CNT: 0
	.section	.text._Z30fast_hadamard_transform_kernelI37fast_hadamard_transform_kernel_traitsILi256ELi13EfEEv18HadamardParamsBase,"axG",@progbits,_Z30fast_hadamard_transform_kernelI37fast_hadamard_transform_kernel_traitsILi256ELi13EfEEv18HadamardParamsBase,comdat
	.protected	_Z30fast_hadamard_transform_kernelI37fast_hadamard_transform_kernel_traitsILi256ELi13EfEEv18HadamardParamsBase ; -- Begin function _Z30fast_hadamard_transform_kernelI37fast_hadamard_transform_kernel_traitsILi256ELi13EfEEv18HadamardParamsBase
	.globl	_Z30fast_hadamard_transform_kernelI37fast_hadamard_transform_kernel_traitsILi256ELi13EfEEv18HadamardParamsBase
	.p2align	8
	.type	_Z30fast_hadamard_transform_kernelI37fast_hadamard_transform_kernel_traitsILi256ELi13EfEEv18HadamardParamsBase,@function
_Z30fast_hadamard_transform_kernelI37fast_hadamard_transform_kernel_traitsILi256ELi13EfEEv18HadamardParamsBase: ; @_Z30fast_hadamard_transform_kernelI37fast_hadamard_transform_kernel_traitsILi256ELi13EfEEv18HadamardParamsBase
; %bb.0:
	s_load_dwordx4 s[24:27], s[4:5], 0x10
	s_load_dword s16, s[4:5], 0x4
	s_load_dwordx4 s[20:23], s[4:5], 0x28
	s_ashr_i32 s7, s6, 31
	s_load_dword s2, s[4:5], 0x44
	s_waitcnt lgkmcnt(0)
	s_mul_hi_u32 s0, s24, s6
	s_mul_i32 s1, s24, s7
	s_add_i32 s0, s0, s1
	s_mul_i32 s1, s25, s6
	s_add_i32 s1, s0, s1
	s_mul_i32 s0, s24, s6
	s_lshl_b64 s[0:1], s[0:1], 2
	s_add_u32 s14, s20, s0
	v_lshlrev_b32_e32 v1, 2, v0
	s_addc_u32 s15, s21, s1
	v_cmp_gt_u32_e64 s[20:21], s16, v1
	v_mov_b32_e32 v1, 0
	v_lshlrev_b32_e32 v37, 4, v0
	v_mov_b32_e32 v5, 0
	v_mov_b32_e32 v6, 0
	;; [unrolled: 1-line block ×4, first 2 shown]
	s_and_saveexec_b64 s[0:1], s[20:21]
	s_cbranch_execz .LBB10_2
; %bb.1:
	global_load_dwordx4 v[5:8], v37, s[14:15]
.LBB10_2:
	s_or_b64 exec, exec, s[0:1]
	s_and_b32 s17, 0xffff, s2
	v_add_u32_e32 v9, s17, v0
	v_lshlrev_b32_e32 v2, 2, v9
	v_cmp_gt_u32_e32 vcc, s16, v2
	v_lshlrev_b32_e32 v33, 4, v9
	v_mov_b32_e32 v2, 0
	v_mov_b32_e32 v3, 0
	v_mov_b32_e32 v4, 0
	s_and_saveexec_b64 s[0:1], vcc
	s_cbranch_execz .LBB10_4
; %bb.3:
	global_load_dwordx4 v[1:4], v33, s[14:15]
.LBB10_4:
	s_or_b64 exec, exec, s[0:1]
	v_add_u32_e32 v10, s17, v9
	v_lshlrev_b32_e32 v9, 2, v10
	v_cmp_gt_u32_e64 s[0:1], s16, v9
	v_mov_b32_e32 v9, 0
	v_lshlrev_b32_e32 v35, 4, v10
	v_mov_b32_e32 v13, 0
	v_mov_b32_e32 v14, 0
	v_mov_b32_e32 v15, 0
	v_mov_b32_e32 v16, 0
	s_and_saveexec_b64 s[2:3], s[0:1]
	s_cbranch_execz .LBB10_6
; %bb.5:
	global_load_dwordx4 v[13:16], v35, s[14:15]
.LBB10_6:
	s_or_b64 exec, exec, s[2:3]
	v_add_u32_e32 v17, s17, v10
	v_lshlrev_b32_e32 v10, 2, v17
	v_cmp_gt_u32_e64 s[2:3], s16, v10
	v_lshlrev_b32_e32 v34, 4, v17
	v_mov_b32_e32 v10, 0
	v_mov_b32_e32 v11, 0
	v_mov_b32_e32 v12, 0
	s_and_saveexec_b64 s[8:9], s[2:3]
	s_cbranch_execz .LBB10_8
; %bb.7:
	global_load_dwordx4 v[9:12], v34, s[14:15]
.LBB10_8:
	s_or_b64 exec, exec, s[8:9]
	v_add_u32_e32 v18, s17, v17
	v_lshlrev_b32_e32 v17, 2, v18
	v_cmp_gt_u32_e64 s[18:19], s16, v17
	v_mov_b32_e32 v17, 0
	v_lshlrev_b32_e32 v36, 4, v18
	v_mov_b32_e32 v21, 0
	v_mov_b32_e32 v22, 0
	v_mov_b32_e32 v23, 0
	v_mov_b32_e32 v24, 0
	s_and_saveexec_b64 s[8:9], s[18:19]
	s_cbranch_execz .LBB10_10
; %bb.9:
	global_load_dwordx4 v[21:24], v36, s[14:15]
.LBB10_10:
	s_or_b64 exec, exec, s[8:9]
	v_add_u32_e32 v25, s17, v18
	v_lshlrev_b32_e32 v18, 2, v25
	v_cmp_gt_u32_e64 s[8:9], s16, v18
	v_lshlrev_b32_e32 v38, 4, v25
	v_mov_b32_e32 v18, 0
	v_mov_b32_e32 v19, 0
	v_mov_b32_e32 v20, 0
	s_and_saveexec_b64 s[10:11], s[8:9]
	;; [unrolled: 28-line block ×3, first 2 shown]
	s_cbranch_execz .LBB10_16
; %bb.15:
	global_load_dwordx4 v[25:28], v40, s[14:15]
.LBB10_16:
	s_or_b64 exec, exec, s[16:17]
	s_waitcnt vmcnt(0)
	v_add_f32_e32 v41, v5, v6
	v_sub_f32_e32 v5, v5, v6
	v_add_f32_e32 v6, v1, v2
	v_sub_f32_e32 v1, v1, v2
	;; [unrolled: 2-line block ×15, first 2 shown]
	v_add_f32_e32 v32, v27, v28
	v_add_f32_e32 v42, v16, v32
	v_sub_f32_e32 v16, v16, v32
	v_add_f32_e32 v32, v5, v7
	v_sub_f32_e32 v5, v5, v7
	;; [unrolled: 2-line block ×3, first 2 shown]
	v_mbcnt_lo_u32_b32 v1, -1, 0
	v_mbcnt_hi_u32_b32 v3, -1, v1
	v_and_b32_e32 v1, 64, v3
	v_sub_f32_e32 v27, v27, v28
	v_add_f32_e32 v28, v41, v22
	v_sub_f32_e32 v22, v41, v22
	v_add_f32_e32 v41, v6, v18
	;; [unrolled: 2-line block ×7, first 2 shown]
	v_sub_f32_e32 v20, v4, v20
	v_add_u32_e32 v4, 64, v1
	v_xor_b32_e32 v1, 1, v3
	s_load_dword s24, s[4:5], 0x20
	v_cmp_lt_i32_e64 s[4:5], v1, v4
	v_cndmask_b32_e64 v1, v3, v1, s[4:5]
	v_lshlrev_b32_e32 v1, 2, v1
	v_add_f32_e32 v44, v13, v15
	v_sub_f32_e32 v13, v13, v15
	v_add_f32_e32 v15, v9, v11
	v_sub_f32_e32 v9, v9, v11
	v_add_f32_e32 v11, v21, v23
	v_sub_f32_e32 v21, v21, v23
	v_add_f32_e32 v23, v17, v19
	v_sub_f32_e32 v17, v17, v19
	v_add_f32_e32 v19, v29, v31
	v_sub_f32_e32 v29, v29, v31
	v_add_f32_e32 v31, v25, v27
	v_sub_f32_e32 v25, v25, v27
	ds_bpermute_b32 v27, v1, v28
	v_and_b32_e32 v45, 1, v0
	v_cmp_eq_u32_e64 s[14:15], 0, v45
	v_cndmask_b32_e64 v28, -v28, v28, s[14:15]
	ds_bpermute_b32 v45, v1, v5
	s_waitcnt lgkmcnt(0)
	v_add_f32_e32 v27, v28, v27
	ds_bpermute_b32 v28, v1, v22
	v_cndmask_b32_e64 v22, -v22, v22, s[14:15]
	v_cndmask_b32_e64 v5, -v5, v5, s[14:15]
	v_add_f32_e32 v5, v5, v45
	ds_bpermute_b32 v45, v1, v7
	s_waitcnt lgkmcnt(1)
	v_add_f32_e32 v22, v22, v28
	ds_bpermute_b32 v28, v1, v41
	v_cndmask_b32_e64 v41, -v41, v41, s[14:15]
	v_cndmask_b32_e64 v7, -v7, v7, s[14:15]
	s_waitcnt lgkmcnt(1)
	v_add_f32_e32 v7, v7, v45
	ds_bpermute_b32 v45, v1, v43
	s_waitcnt lgkmcnt(1)
	v_add_f32_e32 v28, v41, v28
	ds_bpermute_b32 v41, v1, v6
	v_cndmask_b32_e64 v6, -v6, v6, s[14:15]
	v_cndmask_b32_e64 v43, -v43, v43, s[14:15]
	s_waitcnt lgkmcnt(1)
	;; [unrolled: 8-line block ×10, first 2 shown]
	v_add_f32_e32 v17, v17, v45
	ds_bpermute_b32 v45, v1, v19
	s_waitcnt lgkmcnt(1)
	v_add_f32_e32 v8, v8, v2
	ds_bpermute_b32 v2, v1, v24
	v_cndmask_b32_e64 v24, -v24, v24, s[14:15]
	ds_bpermute_b32 v46, v1, v32
	v_cndmask_b32_e64 v19, -v19, v19, s[14:15]
	v_cndmask_b32_e64 v32, -v32, v32, s[14:15]
	s_waitcnt lgkmcnt(1)
	v_add_f32_e32 v24, v24, v2
	ds_bpermute_b32 v2, v1, v20
	v_cndmask_b32_e64 v20, -v20, v20, s[14:15]
	v_add_f32_e32 v19, v19, v45
	ds_bpermute_b32 v45, v1, v29
	s_waitcnt lgkmcnt(2)
	v_add_f32_e32 v32, v32, v46
	s_waitcnt lgkmcnt(1)
	v_add_f32_e32 v20, v20, v2
	ds_bpermute_b32 v2, v1, v42
	v_cndmask_b32_e64 v42, -v42, v42, s[14:15]
	ds_bpermute_b32 v46, v1, v25
	v_cndmask_b32_e64 v29, -v29, v29, s[14:15]
	s_waitcnt lgkmcnt(2)
	v_add_f32_e32 v29, v29, v45
	s_waitcnt lgkmcnt(1)
	v_add_f32_e32 v42, v42, v2
	ds_bpermute_b32 v2, v1, v16
	v_cndmask_b32_e64 v16, -v16, v16, s[14:15]
	ds_bpermute_b32 v45, v1, v31
	v_cndmask_b32_e64 v31, -v31, v31, s[14:15]
	s_waitcnt lgkmcnt(0)
	v_add_f32_e32 v16, v16, v2
	v_cndmask_b32_e64 v2, -v25, v25, s[14:15]
	v_add_f32_e32 v25, v2, v46
	v_xor_b32_e32 v2, 2, v3
	v_cmp_lt_i32_e64 s[4:5], v2, v4
	v_cndmask_b32_e64 v2, v3, v2, s[4:5]
	v_lshlrev_b32_e32 v2, 2, v2
	v_add_f32_e32 v31, v31, v45
	ds_bpermute_b32 v45, v2, v27
	v_and_b32_e32 v46, 2, v0
	v_cmp_eq_u32_e64 s[16:17], 0, v46
	v_cndmask_b32_e64 v27, -v27, v27, s[16:17]
	ds_bpermute_b32 v46, v2, v5
	s_waitcnt lgkmcnt(1)
	v_add_f32_e32 v27, v27, v45
	ds_bpermute_b32 v45, v2, v22
	v_cndmask_b32_e64 v22, -v22, v22, s[16:17]
	v_cndmask_b32_e64 v5, -v5, v5, s[16:17]
	s_waitcnt lgkmcnt(1)
	v_add_f32_e32 v5, v5, v46
	ds_bpermute_b32 v46, v2, v7
	s_waitcnt lgkmcnt(1)
	v_add_f32_e32 v22, v22, v45
	ds_bpermute_b32 v45, v2, v28
	v_cndmask_b32_e64 v28, -v28, v28, s[16:17]
	v_cndmask_b32_e64 v7, -v7, v7, s[16:17]
	s_waitcnt lgkmcnt(1)
	v_add_f32_e32 v7, v7, v46
	;; [unrolled: 8-line block ×12, first 2 shown]
	ds_bpermute_b32 v46, v2, v29
	s_waitcnt lgkmcnt(1)
	v_add_f32_e32 v24, v24, v45
	ds_bpermute_b32 v45, v2, v20
	v_cndmask_b32_e64 v20, -v20, v20, s[16:17]
	ds_bpermute_b32 v47, v2, v32
	v_cndmask_b32_e64 v29, -v29, v29, s[16:17]
	s_waitcnt lgkmcnt(2)
	v_add_f32_e32 v29, v29, v46
	s_waitcnt lgkmcnt(1)
	v_add_f32_e32 v20, v20, v45
	ds_bpermute_b32 v45, v2, v42
	v_cndmask_b32_e64 v42, -v42, v42, s[16:17]
	ds_bpermute_b32 v46, v2, v31
	v_cndmask_b32_e64 v32, -v32, v32, s[16:17]
	s_waitcnt lgkmcnt(2)
	v_add_f32_e32 v32, v32, v47
	;; [unrolled: 8-line block ×3, first 2 shown]
	s_waitcnt lgkmcnt(1)
	v_add_f32_e32 v16, v16, v45
	v_xor_b32_e32 v45, 4, v3
	v_cmp_lt_i32_e64 s[4:5], v45, v4
	v_cndmask_b32_e64 v45, v3, v45, s[4:5]
	v_lshlrev_b32_e32 v45, 2, v45
	ds_bpermute_b32 v46, v45, v27
	v_cndmask_b32_e64 v25, -v25, v25, s[16:17]
	s_waitcnt lgkmcnt(1)
	v_add_f32_e32 v25, v25, v47
	v_and_b32_e32 v47, 4, v0
	v_cmp_eq_u32_e64 s[4:5], 0, v47
	v_cndmask_b32_e64 v27, -v27, v27, s[4:5]
	s_waitcnt lgkmcnt(0)
	v_add_f32_e32 v27, v27, v46
	ds_bpermute_b32 v46, v45, v22
	v_cndmask_b32_e64 v22, -v22, v22, s[4:5]
	ds_bpermute_b32 v47, v45, v5
	v_cndmask_b32_e64 v5, -v5, v5, s[4:5]
	ds_bpermute_b32 v48, v45, v32
	s_waitcnt lgkmcnt(2)
	v_add_f32_e32 v22, v22, v46
	ds_bpermute_b32 v46, v45, v28
	v_cndmask_b32_e64 v28, -v28, v28, s[4:5]
	s_waitcnt lgkmcnt(2)
	v_add_f32_e32 v5, v5, v47
	ds_bpermute_b32 v47, v45, v7
	v_cndmask_b32_e64 v7, -v7, v7, s[4:5]
	;; [unrolled: 4-line block ×26, first 2 shown]
	s_waitcnt lgkmcnt(1)
	v_add_f32_e32 v42, v42, v46
	ds_bpermute_b32 v46, v45, v16
	ds_bpermute_b32 v45, v45, v25
	v_cndmask_b32_e64 v25, -v25, v25, s[4:5]
	v_cndmask_b32_e64 v31, -v31, v31, s[4:5]
	;; [unrolled: 1-line block ×3, first 2 shown]
	s_waitcnt lgkmcnt(1)
	v_add_f32_e32 v16, v16, v46
	s_waitcnt lgkmcnt(0)
	v_add_f32_e32 v25, v25, v45
	v_xor_b32_e32 v45, 8, v3
	v_cmp_lt_i32_e64 s[4:5], v45, v4
	v_cndmask_b32_e64 v45, v3, v45, s[4:5]
	v_lshlrev_b32_e32 v45, 2, v45
	ds_bpermute_b32 v46, v45, v27
	v_add_f32_e32 v31, v31, v47
	v_and_b32_e32 v47, 8, v0
	v_cmp_eq_u32_e64 s[4:5], 0, v47
	v_cndmask_b32_e64 v27, -v27, v27, s[4:5]
	s_waitcnt lgkmcnt(0)
	v_add_f32_e32 v27, v27, v46
	ds_bpermute_b32 v46, v45, v22
	v_cndmask_b32_e64 v22, -v22, v22, s[4:5]
	ds_bpermute_b32 v47, v45, v5
	v_cndmask_b32_e64 v5, -v5, v5, s[4:5]
	v_add_f32_e32 v32, v32, v48
	s_waitcnt lgkmcnt(1)
	v_add_f32_e32 v22, v22, v46
	ds_bpermute_b32 v46, v45, v28
	v_cndmask_b32_e64 v28, -v28, v28, s[4:5]
	s_waitcnt lgkmcnt(1)
	v_add_f32_e32 v5, v5, v47
	ds_bpermute_b32 v47, v45, v7
	v_cndmask_b32_e64 v7, -v7, v7, s[4:5]
	;; [unrolled: 4-line block ×25, first 2 shown]
	ds_bpermute_b32 v48, v45, v32
	s_waitcnt lgkmcnt(2)
	v_add_f32_e32 v29, v29, v47
	ds_bpermute_b32 v47, v45, v31
	s_waitcnt lgkmcnt(2)
	v_add_f32_e32 v42, v42, v46
	ds_bpermute_b32 v46, v45, v16
	ds_bpermute_b32 v45, v45, v25
	v_cndmask_b32_e64 v25, -v25, v25, s[4:5]
	v_cndmask_b32_e64 v32, -v32, v32, s[4:5]
	;; [unrolled: 1-line block ×4, first 2 shown]
	s_waitcnt lgkmcnt(0)
	v_add_f32_e32 v25, v25, v45
	v_xor_b32_e32 v45, 16, v3
	v_cmp_lt_i32_e64 s[4:5], v45, v4
	v_cndmask_b32_e64 v45, v3, v45, s[4:5]
	v_lshlrev_b32_e32 v45, 2, v45
	v_add_f32_e32 v16, v16, v46
	ds_bpermute_b32 v46, v45, v27
	v_add_f32_e32 v31, v31, v47
	v_and_b32_e32 v47, 16, v0
	v_cmp_eq_u32_e64 s[4:5], 0, v47
	v_cndmask_b32_e64 v27, -v27, v27, s[4:5]
	s_waitcnt lgkmcnt(0)
	v_add_f32_e32 v27, v27, v46
	ds_bpermute_b32 v46, v45, v22
	ds_bpermute_b32 v47, v45, v5
	v_cndmask_b32_e64 v22, -v22, v22, s[4:5]
	v_add_f32_e32 v32, v32, v48
	v_cndmask_b32_e64 v5, -v5, v5, s[4:5]
	s_waitcnt lgkmcnt(1)
	v_add_f32_e32 v22, v22, v46
	ds_bpermute_b32 v46, v45, v28
	ds_bpermute_b32 v48, v45, v32
	s_waitcnt lgkmcnt(2)
	v_add_f32_e32 v47, v5, v47
	ds_bpermute_b32 v5, v45, v7
	v_cndmask_b32_e64 v28, -v28, v28, s[4:5]
	s_waitcnt lgkmcnt(2)
	v_add_f32_e32 v28, v28, v46
	ds_bpermute_b32 v46, v45, v6
	v_cndmask_b32_e64 v32, -v32, v32, s[4:5]
	v_cndmask_b32_e64 v7, -v7, v7, s[4:5]
	s_waitcnt lgkmcnt(2)
	v_add_f32_e32 v32, v32, v48
	s_waitcnt lgkmcnt(1)
	v_add_f32_e32 v48, v7, v5
	ds_bpermute_b32 v5, v45, v43
	v_cndmask_b32_e64 v6, -v6, v6, s[4:5]
	s_waitcnt lgkmcnt(1)
	v_add_f32_e32 v46, v6, v46
	ds_bpermute_b32 v6, v45, v18
	v_cndmask_b32_e64 v7, -v43, v43, s[4:5]
	;; [unrolled: 4-line block ×22, first 2 shown]
	s_waitcnt lgkmcnt(1)
	v_add_f32_e32 v63, v7, v5
	v_cndmask_b32_e64 v5, -v42, v42, s[4:5]
	ds_bpermute_b32 v7, v45, v31
	s_waitcnt lgkmcnt(1)
	v_add_f32_e32 v42, v5, v6
	ds_bpermute_b32 v5, v45, v16
	ds_bpermute_b32 v8, v45, v25
	v_cndmask_b32_e64 v6, -v31, v31, s[4:5]
	s_waitcnt lgkmcnt(2)
	v_add_f32_e32 v31, v6, v7
	v_cndmask_b32_e64 v6, -v16, v16, s[4:5]
	s_waitcnt lgkmcnt(1)
	v_add_f32_e32 v45, v6, v5
	;; [unrolled: 3-line block ×3, first 2 shown]
	v_xor_b32_e32 v5, 32, v3
	v_cmp_lt_i32_e64 s[4:5], v5, v4
	v_cndmask_b32_e64 v3, v3, v5, s[4:5]
	v_lshlrev_b32_e32 v65, 2, v3
	ds_bpermute_b32 v3, v65, v27
	ds_bpermute_b32 v5, v65, v32
	v_and_b32_e32 v4, 32, v0
	ds_bpermute_b32 v6, v65, v22
	v_cmp_eq_u32_e64 s[4:5], 0, v4
	ds_bpermute_b32 v7, v65, v47
	v_cndmask_b32_e64 v4, -v27, v27, s[4:5]
	ds_bpermute_b32 v8, v65, v28
	s_waitcnt lgkmcnt(4)
	v_add_f32_e32 v3, v4, v3
	v_cndmask_b32_e64 v4, -v32, v32, s[4:5]
	ds_bpermute_b32 v9, v65, v48
	s_waitcnt lgkmcnt(4)
	v_add_f32_e32 v4, v4, v5
	;; [unrolled: 4-line block ×25, first 2 shown]
	v_cndmask_b32_e64 v28, -v61, v61, s[4:5]
	s_waitcnt lgkmcnt(3)
	v_add_f32_e32 v28, v28, v29
	v_cndmask_b32_e64 v29, -v62, v62, s[4:5]
	s_waitcnt lgkmcnt(2)
	v_add_f32_e32 v29, v29, v30
	;; [unrolled: 3-line block ×3, first 2 shown]
	v_cndmask_b32_e64 v32, -v42, v42, s[4:5]
	ds_bpermute_b32 v42, v65, v31
	s_waitcnt lgkmcnt(1)
	v_add_f32_e32 v41, v32, v41
	ds_bpermute_b32 v32, v65, v45
	ds_bpermute_b32 v44, v65, v64
	v_cndmask_b32_e64 v31, -v31, v31, s[4:5]
	s_waitcnt lgkmcnt(2)
	v_add_f32_e32 v42, v31, v42
	v_cndmask_b32_e64 v31, -v45, v45, s[4:5]
	s_waitcnt lgkmcnt(1)
	v_add_f32_e32 v43, v31, v32
	;; [unrolled: 3-line block ×3, first 2 shown]
	v_lshrrev_b32_e32 v31, 6, v0
	v_and_b32_e32 v32, 3, v0
	v_lshrrev_b32_e32 v45, 2, v0
	v_xor_b32_e32 v0, v31, v0
	v_lshl_add_u32 v46, v0, 4, 0
	v_lshl_or_b32 v0, v32, 6, v45
	v_xor_b32_e32 v0, v0, v32
	v_lshl_add_u32 v0, v0, 4, 0
	s_barrier
	ds_write_b128 v46, v[3:6]
	ds_write_b128 v46, v[7:10] offset:4096
	ds_write_b128 v46, v[11:14] offset:8192
	;; [unrolled: 1-line block ×7, first 2 shown]
	s_waitcnt lgkmcnt(0)
	s_barrier
	ds_read_b128 v[3:6], v0
	ds_read_b128 v[7:10], v0 offset:4096
	ds_read_b128 v[11:14], v0 offset:8192
	;; [unrolled: 1-line block ×5, first 2 shown]
	s_waitcnt lgkmcnt(5)
	ds_bpermute_b32 v31, v1, v3
	ds_bpermute_b32 v32, v1, v4
	v_cndmask_b32_e64 v3, -v3, v3, s[14:15]
	v_cndmask_b32_e64 v4, -v4, v4, s[14:15]
	ds_read_b128 v[27:30], v0 offset:24576
	ds_read_b128 v[41:44], v0 offset:28672
	s_waitcnt lgkmcnt(3)
	v_add_f32_e32 v3, v3, v31
	ds_bpermute_b32 v31, v1, v5
	s_waitcnt lgkmcnt(3)
	v_add_f32_e32 v4, v4, v32
	ds_bpermute_b32 v32, v1, v6
	v_cndmask_b32_e64 v5, -v5, v5, s[14:15]
	v_cndmask_b32_e64 v6, -v6, v6, s[14:15]
	s_waitcnt lgkmcnt(1)
	v_add_f32_e32 v5, v5, v31
	ds_bpermute_b32 v31, v1, v7
	s_waitcnt lgkmcnt(1)
	v_add_f32_e32 v6, v6, v32
	ds_bpermute_b32 v32, v1, v8
	v_cndmask_b32_e64 v7, -v7, v7, s[14:15]
	v_cndmask_b32_e64 v8, -v8, v8, s[14:15]
	;; [unrolled: 8-line block ×14, first 2 shown]
	s_waitcnt lgkmcnt(1)
	v_add_f32_e32 v31, v41, v31
	ds_bpermute_b32 v41, v1, v43
	s_waitcnt lgkmcnt(1)
	v_add_f32_e32 v32, v42, v32
	ds_bpermute_b32 v1, v1, v44
	v_cndmask_b32_e64 v42, -v43, v43, s[14:15]
	s_waitcnt lgkmcnt(0)
	v_add_f32_e32 v43, v42, v41
	ds_bpermute_b32 v41, v2, v3
	v_cndmask_b32_e64 v42, -v44, v44, s[14:15]
	v_add_f32_e32 v1, v42, v1
	ds_bpermute_b32 v42, v2, v4
	v_cndmask_b32_e64 v3, -v3, v3, s[16:17]
	s_waitcnt lgkmcnt(1)
	v_add_f32_e32 v3, v3, v41
	ds_bpermute_b32 v41, v2, v5
	v_cndmask_b32_e64 v4, -v4, v4, s[16:17]
	s_waitcnt lgkmcnt(1)
	;; [unrolled: 4-line block ×28, first 2 shown]
	v_add_f32_e32 v30, v30, v42
	v_cndmask_b32_e64 v31, -v31, v31, s[16:17]
	ds_bpermute_b32 v42, v2, v32
	s_waitcnt lgkmcnt(1)
	v_add_f32_e32 v41, v31, v41
	ds_bpermute_b32 v31, v2, v43
	ds_bpermute_b32 v2, v2, v1
	v_cndmask_b32_e64 v32, -v32, v32, s[16:17]
	s_waitcnt lgkmcnt(2)
	v_add_f32_e32 v42, v32, v42
	v_cndmask_b32_e64 v32, -v43, v43, s[16:17]
	v_cndmask_b32_e64 v1, -v1, v1, s[16:17]
	s_waitcnt lgkmcnt(1)
	v_add_f32_e32 v43, v32, v31
	s_waitcnt lgkmcnt(0)
	v_add_f32_e32 v44, v1, v2
	s_barrier
	ds_write_b128 v0, v[3:6]
	ds_write_b128 v0, v[7:10] offset:4096
	ds_write_b128 v0, v[11:14] offset:8192
	;; [unrolled: 1-line block ×7, first 2 shown]
	s_waitcnt lgkmcnt(0)
	s_barrier
	ds_read_b128 v[24:27], v46
	ds_read_b128 v[28:31], v46 offset:4096
	ds_read_b128 v[16:19], v46 offset:8192
	;; [unrolled: 1-line block ×7, first 2 shown]
	s_mul_i32 s4, s26, s7
	s_mul_hi_u32 s5, s26, s6
	s_add_i32 s4, s5, s4
	s_mul_i32 s5, s27, s6
	s_add_i32 s5, s4, s5
	s_mul_i32 s4, s26, s6
	s_lshl_b64 s[4:5], s[4:5], 2
	s_waitcnt lgkmcnt(6)
	v_add_f32_e32 v48, v24, v28
	v_add_f32_e32 v49, v25, v29
	v_add_f32_e32 v50, v26, v30
	v_add_f32_e32 v51, v27, v31
	s_waitcnt lgkmcnt(4)
	v_add_f32_e32 v52, v16, v20
	v_add_f32_e32 v53, v17, v21
	v_add_f32_e32 v54, v18, v22
	v_add_f32_e32 v55, v19, v23
	;; [unrolled: 5-line block ×3, first 2 shown]
	s_add_u32 s4, s22, s4
	s_waitcnt lgkmcnt(0)
	v_add_f32_e32 v60, v0, v4
	v_add_f32_e32 v61, v1, v5
	;; [unrolled: 1-line block ×4, first 2 shown]
	s_addc_u32 s5, s23, s5
	v_add_f32_e32 v32, v48, v52
	v_add_f32_e32 v41, v49, v53
	;; [unrolled: 1-line block ×8, first 2 shown]
	s_and_saveexec_b64 s[6:7], s[20:21]
	s_cbranch_execz .LBB10_18
; %bb.17:
	v_add_f32_e32 v64, v43, v47
	v_add_f32_e32 v65, v42, v46
	;; [unrolled: 1-line block ×4, first 2 shown]
	v_mul_f32_e32 v67, s24, v64
	v_mul_f32_e32 v66, s24, v65
	;; [unrolled: 1-line block ×4, first 2 shown]
	global_store_dwordx4 v37, v[64:67], s[4:5]
.LBB10_18:
	s_or_b64 exec, exec, s[6:7]
	v_sub_f32_e32 v24, v24, v28
	v_sub_f32_e32 v25, v25, v29
	;; [unrolled: 1-line block ×16, first 2 shown]
	v_add_f32_e32 v0, v24, v16
	v_add_f32_e32 v1, v25, v17
	;; [unrolled: 1-line block ×8, first 2 shown]
	s_and_saveexec_b64 s[6:7], vcc
	s_cbranch_execz .LBB10_20
; %bb.19:
	v_add_f32_e32 v8, v0, v4
	v_add_f32_e32 v9, v1, v5
	;; [unrolled: 1-line block ×4, first 2 shown]
	v_mul_f32_e32 v8, s24, v8
	v_mul_f32_e32 v9, s24, v9
	;; [unrolled: 1-line block ×4, first 2 shown]
	global_store_dwordx4 v33, v[8:11], s[4:5]
.LBB10_20:
	s_or_b64 exec, exec, s[6:7]
	v_sub_f32_e32 v8, v48, v52
	v_sub_f32_e32 v9, v49, v53
	;; [unrolled: 1-line block ×8, first 2 shown]
	s_and_saveexec_b64 s[6:7], s[0:1]
	s_cbranch_execz .LBB10_22
; %bb.21:
	v_add_f32_e32 v33, v8, v12
	v_add_f32_e32 v37, v9, v13
	;; [unrolled: 1-line block ×4, first 2 shown]
	v_mul_f32_e32 v48, s24, v33
	v_mul_f32_e32 v49, s24, v37
	v_mul_f32_e32 v50, s24, v50
	v_mul_f32_e32 v51, s24, v51
	global_store_dwordx4 v35, v[48:51], s[4:5]
.LBB10_22:
	s_or_b64 exec, exec, s[6:7]
	v_sub_f32_e32 v16, v24, v16
	v_sub_f32_e32 v17, v25, v17
	;; [unrolled: 1-line block ×8, first 2 shown]
	s_and_saveexec_b64 s[0:1], s[2:3]
	s_cbranch_execnz .LBB10_28
; %bb.23:
	s_or_b64 exec, exec, s[0:1]
	s_and_saveexec_b64 s[0:1], s[18:19]
	s_cbranch_execnz .LBB10_29
.LBB10_24:
	s_or_b64 exec, exec, s[0:1]
	s_and_saveexec_b64 s[0:1], s[8:9]
	s_cbranch_execnz .LBB10_30
.LBB10_25:
	s_or_b64 exec, exec, s[0:1]
	s_and_saveexec_b64 s[0:1], s[10:11]
	s_cbranch_execnz .LBB10_31
.LBB10_26:
	s_or_b64 exec, exec, s[0:1]
	s_and_saveexec_b64 s[0:1], s[12:13]
	s_cbranch_execnz .LBB10_32
.LBB10_27:
	s_endpgm
.LBB10_28:
	v_add_f32_e32 v24, v16, v20
	v_add_f32_e32 v25, v17, v21
	;; [unrolled: 1-line block ×4, first 2 shown]
	v_mul_f32_e32 v24, s24, v24
	v_mul_f32_e32 v25, s24, v25
	;; [unrolled: 1-line block ×4, first 2 shown]
	global_store_dwordx4 v34, v[24:27], s[4:5]
	s_or_b64 exec, exec, s[0:1]
	s_and_saveexec_b64 s[0:1], s[18:19]
	s_cbranch_execz .LBB10_24
.LBB10_29:
	v_sub_f32_e32 v24, v32, v44
	v_sub_f32_e32 v25, v41, v45
	;; [unrolled: 1-line block ×4, first 2 shown]
	v_mul_f32_e32 v24, s24, v24
	v_mul_f32_e32 v25, s24, v25
	;; [unrolled: 1-line block ×4, first 2 shown]
	global_store_dwordx4 v36, v[24:27], s[4:5]
	s_or_b64 exec, exec, s[0:1]
	s_and_saveexec_b64 s[0:1], s[8:9]
	s_cbranch_execz .LBB10_25
.LBB10_30:
	v_sub_f32_e32 v0, v0, v4
	v_sub_f32_e32 v1, v1, v5
	;; [unrolled: 1-line block ×4, first 2 shown]
	v_mul_f32_e32 v0, s24, v0
	v_mul_f32_e32 v1, s24, v1
	;; [unrolled: 1-line block ×4, first 2 shown]
	global_store_dwordx4 v38, v[0:3], s[4:5]
	s_or_b64 exec, exec, s[0:1]
	s_and_saveexec_b64 s[0:1], s[10:11]
	s_cbranch_execz .LBB10_26
.LBB10_31:
	v_sub_f32_e32 v0, v8, v12
	v_sub_f32_e32 v1, v9, v13
	;; [unrolled: 1-line block ×4, first 2 shown]
	v_mul_f32_e32 v0, s24, v0
	v_mul_f32_e32 v1, s24, v1
	v_mul_f32_e32 v2, s24, v2
	v_mul_f32_e32 v3, s24, v3
	global_store_dwordx4 v39, v[0:3], s[4:5]
	s_or_b64 exec, exec, s[0:1]
	s_and_saveexec_b64 s[0:1], s[12:13]
	s_cbranch_execz .LBB10_27
.LBB10_32:
	v_sub_f32_e32 v0, v16, v20
	v_sub_f32_e32 v1, v17, v21
	;; [unrolled: 1-line block ×4, first 2 shown]
	v_mul_f32_e32 v0, s24, v0
	v_mul_f32_e32 v1, s24, v1
	;; [unrolled: 1-line block ×4, first 2 shown]
	global_store_dwordx4 v40, v[0:3], s[4:5]
	s_endpgm
	.section	.rodata,"a",@progbits
	.p2align	6, 0x0
	.amdhsa_kernel _Z30fast_hadamard_transform_kernelI37fast_hadamard_transform_kernel_traitsILi256ELi13EfEEv18HadamardParamsBase
		.amdhsa_group_segment_fixed_size 0
		.amdhsa_private_segment_fixed_size 0
		.amdhsa_kernarg_size 312
		.amdhsa_user_sgpr_count 6
		.amdhsa_user_sgpr_private_segment_buffer 1
		.amdhsa_user_sgpr_dispatch_ptr 0
		.amdhsa_user_sgpr_queue_ptr 0
		.amdhsa_user_sgpr_kernarg_segment_ptr 1
		.amdhsa_user_sgpr_dispatch_id 0
		.amdhsa_user_sgpr_flat_scratch_init 0
		.amdhsa_user_sgpr_private_segment_size 0
		.amdhsa_uses_dynamic_stack 0
		.amdhsa_system_sgpr_private_segment_wavefront_offset 0
		.amdhsa_system_sgpr_workgroup_id_x 1
		.amdhsa_system_sgpr_workgroup_id_y 0
		.amdhsa_system_sgpr_workgroup_id_z 0
		.amdhsa_system_sgpr_workgroup_info 0
		.amdhsa_system_vgpr_workitem_id 0
		.amdhsa_next_free_vgpr 70
		.amdhsa_next_free_sgpr 28
		.amdhsa_reserve_vcc 1
		.amdhsa_reserve_flat_scratch 0
		.amdhsa_float_round_mode_32 0
		.amdhsa_float_round_mode_16_64 0
		.amdhsa_float_denorm_mode_32 3
		.amdhsa_float_denorm_mode_16_64 3
		.amdhsa_dx10_clamp 1
		.amdhsa_ieee_mode 1
		.amdhsa_fp16_overflow 0
		.amdhsa_exception_fp_ieee_invalid_op 0
		.amdhsa_exception_fp_denorm_src 0
		.amdhsa_exception_fp_ieee_div_zero 0
		.amdhsa_exception_fp_ieee_overflow 0
		.amdhsa_exception_fp_ieee_underflow 0
		.amdhsa_exception_fp_ieee_inexact 0
		.amdhsa_exception_int_div_zero 0
	.end_amdhsa_kernel
	.section	.text._Z30fast_hadamard_transform_kernelI37fast_hadamard_transform_kernel_traitsILi256ELi13EfEEv18HadamardParamsBase,"axG",@progbits,_Z30fast_hadamard_transform_kernelI37fast_hadamard_transform_kernel_traitsILi256ELi13EfEEv18HadamardParamsBase,comdat
.Lfunc_end10:
	.size	_Z30fast_hadamard_transform_kernelI37fast_hadamard_transform_kernel_traitsILi256ELi13EfEEv18HadamardParamsBase, .Lfunc_end10-_Z30fast_hadamard_transform_kernelI37fast_hadamard_transform_kernel_traitsILi256ELi13EfEEv18HadamardParamsBase
                                        ; -- End function
	.set _Z30fast_hadamard_transform_kernelI37fast_hadamard_transform_kernel_traitsILi256ELi13EfEEv18HadamardParamsBase.num_vgpr, 70
	.set _Z30fast_hadamard_transform_kernelI37fast_hadamard_transform_kernel_traitsILi256ELi13EfEEv18HadamardParamsBase.num_agpr, 0
	.set _Z30fast_hadamard_transform_kernelI37fast_hadamard_transform_kernel_traitsILi256ELi13EfEEv18HadamardParamsBase.numbered_sgpr, 28
	.set _Z30fast_hadamard_transform_kernelI37fast_hadamard_transform_kernel_traitsILi256ELi13EfEEv18HadamardParamsBase.num_named_barrier, 0
	.set _Z30fast_hadamard_transform_kernelI37fast_hadamard_transform_kernel_traitsILi256ELi13EfEEv18HadamardParamsBase.private_seg_size, 0
	.set _Z30fast_hadamard_transform_kernelI37fast_hadamard_transform_kernel_traitsILi256ELi13EfEEv18HadamardParamsBase.uses_vcc, 1
	.set _Z30fast_hadamard_transform_kernelI37fast_hadamard_transform_kernel_traitsILi256ELi13EfEEv18HadamardParamsBase.uses_flat_scratch, 0
	.set _Z30fast_hadamard_transform_kernelI37fast_hadamard_transform_kernel_traitsILi256ELi13EfEEv18HadamardParamsBase.has_dyn_sized_stack, 0
	.set _Z30fast_hadamard_transform_kernelI37fast_hadamard_transform_kernel_traitsILi256ELi13EfEEv18HadamardParamsBase.has_recursion, 0
	.set _Z30fast_hadamard_transform_kernelI37fast_hadamard_transform_kernel_traitsILi256ELi13EfEEv18HadamardParamsBase.has_indirect_call, 0
	.section	.AMDGPU.csdata,"",@progbits
; Kernel info:
; codeLenInByte = 8240
; TotalNumSgprs: 32
; NumVgprs: 70
; ScratchSize: 0
; MemoryBound: 0
; FloatMode: 240
; IeeeMode: 1
; LDSByteSize: 0 bytes/workgroup (compile time only)
; SGPRBlocks: 3
; VGPRBlocks: 17
; NumSGPRsForWavesPerEU: 32
; NumVGPRsForWavesPerEU: 70
; Occupancy: 3
; WaveLimiterHint : 0
; COMPUTE_PGM_RSRC2:SCRATCH_EN: 0
; COMPUTE_PGM_RSRC2:USER_SGPR: 6
; COMPUTE_PGM_RSRC2:TRAP_HANDLER: 0
; COMPUTE_PGM_RSRC2:TGID_X_EN: 1
; COMPUTE_PGM_RSRC2:TGID_Y_EN: 0
; COMPUTE_PGM_RSRC2:TGID_Z_EN: 0
; COMPUTE_PGM_RSRC2:TIDIG_COMP_CNT: 0
	.section	.text._Z30fast_hadamard_transform_kernelI37fast_hadamard_transform_kernel_traitsILi256ELi14EfEEv18HadamardParamsBase,"axG",@progbits,_Z30fast_hadamard_transform_kernelI37fast_hadamard_transform_kernel_traitsILi256ELi14EfEEv18HadamardParamsBase,comdat
	.protected	_Z30fast_hadamard_transform_kernelI37fast_hadamard_transform_kernel_traitsILi256ELi14EfEEv18HadamardParamsBase ; -- Begin function _Z30fast_hadamard_transform_kernelI37fast_hadamard_transform_kernel_traitsILi256ELi14EfEEv18HadamardParamsBase
	.globl	_Z30fast_hadamard_transform_kernelI37fast_hadamard_transform_kernel_traitsILi256ELi14EfEEv18HadamardParamsBase
	.p2align	8
	.type	_Z30fast_hadamard_transform_kernelI37fast_hadamard_transform_kernel_traitsILi256ELi14EfEEv18HadamardParamsBase,@function
_Z30fast_hadamard_transform_kernelI37fast_hadamard_transform_kernel_traitsILi256ELi14EfEEv18HadamardParamsBase: ; @_Z30fast_hadamard_transform_kernelI37fast_hadamard_transform_kernel_traitsILi256ELi14EfEEv18HadamardParamsBase
; %bb.0:
	s_load_dwordx4 s[44:47], s[4:5], 0x10
	s_load_dword s33, s[4:5], 0x4
	s_load_dwordx4 s[40:43], s[4:5], 0x28
	s_ashr_i32 s7, s6, 31
	s_load_dword s2, s[4:5], 0x44
	s_waitcnt lgkmcnt(0)
	s_mul_hi_u32 s0, s44, s6
	s_mul_i32 s1, s44, s7
	s_add_i32 s0, s0, s1
	s_mul_i32 s1, s45, s6
	s_add_i32 s1, s0, s1
	s_mul_i32 s0, s44, s6
	s_lshl_b64 s[0:1], s[0:1], 2
	s_add_u32 s30, s40, s0
	v_lshlrev_b32_e32 v1, 2, v0
	s_addc_u32 s31, s41, s1
	v_cmp_gt_u32_e64 s[28:29], s33, v1
	v_mov_b32_e32 v1, 0
	v_lshlrev_b32_e32 v83, 4, v0
	v_mov_b32_e32 v5, 0
	v_mov_b32_e32 v6, 0
	;; [unrolled: 1-line block ×4, first 2 shown]
	s_and_saveexec_b64 s[0:1], s[28:29]
	s_cbranch_execz .LBB11_2
; %bb.1:
	global_load_dwordx4 v[5:8], v83, s[30:31]
.LBB11_2:
	s_or_b64 exec, exec, s[0:1]
	s_and_b32 s40, 0xffff, s2
	v_add_u32_e32 v9, s40, v0
	v_lshlrev_b32_e32 v2, 2, v9
	v_cmp_gt_u32_e64 s[16:17], s33, v2
	v_lshlrev_b32_e32 v80, 4, v9
	v_mov_b32_e32 v2, 0
	v_mov_b32_e32 v3, 0
	;; [unrolled: 1-line block ×3, first 2 shown]
	s_and_saveexec_b64 s[0:1], s[16:17]
	s_cbranch_execz .LBB11_4
; %bb.3:
	global_load_dwordx4 v[1:4], v80, s[30:31]
.LBB11_4:
	s_or_b64 exec, exec, s[0:1]
	v_add_u32_e32 v10, s40, v9
	v_lshlrev_b32_e32 v9, 2, v10
	v_cmp_gt_u32_e64 s[10:11], s33, v9
	v_mov_b32_e32 v9, 0
	v_lshlrev_b32_e32 v77, 4, v10
	v_mov_b32_e32 v13, 0
	v_mov_b32_e32 v14, 0
	;; [unrolled: 1-line block ×4, first 2 shown]
	s_and_saveexec_b64 s[0:1], s[10:11]
	s_cbranch_execz .LBB11_6
; %bb.5:
	global_load_dwordx4 v[13:16], v77, s[30:31]
.LBB11_6:
	s_or_b64 exec, exec, s[0:1]
	v_add_u32_e32 v17, s40, v10
	v_lshlrev_b32_e32 v10, 2, v17
	v_cmp_gt_u32_e32 vcc, s33, v10
	v_lshlrev_b32_e32 v71, 4, v17
	v_mov_b32_e32 v10, 0
	v_mov_b32_e32 v11, 0
	;; [unrolled: 1-line block ×3, first 2 shown]
	s_and_saveexec_b64 s[0:1], vcc
	s_cbranch_execz .LBB11_8
; %bb.7:
	global_load_dwordx4 v[9:12], v71, s[30:31]
.LBB11_8:
	s_or_b64 exec, exec, s[0:1]
	v_add_u32_e32 v18, s40, v17
	v_lshlrev_b32_e32 v17, 2, v18
	v_cmp_gt_u32_e64 s[0:1], s33, v17
	v_mov_b32_e32 v17, 0
	v_lshlrev_b32_e32 v73, 4, v18
	v_mov_b32_e32 v21, 0
	v_mov_b32_e32 v22, 0
	v_mov_b32_e32 v23, 0
	v_mov_b32_e32 v24, 0
	s_and_saveexec_b64 s[2:3], s[0:1]
	s_cbranch_execz .LBB11_10
; %bb.9:
	global_load_dwordx4 v[21:24], v73, s[30:31]
.LBB11_10:
	s_or_b64 exec, exec, s[2:3]
	v_add_u32_e32 v25, s40, v18
	v_lshlrev_b32_e32 v18, 2, v25
	v_cmp_gt_u32_e64 s[2:3], s33, v18
	v_lshlrev_b32_e32 v72, 4, v25
	v_mov_b32_e32 v18, 0
	v_mov_b32_e32 v19, 0
	v_mov_b32_e32 v20, 0
	s_and_saveexec_b64 s[8:9], s[2:3]
	s_cbranch_execz .LBB11_12
; %bb.11:
	global_load_dwordx4 v[17:20], v72, s[30:31]
.LBB11_12:
	s_or_b64 exec, exec, s[8:9]
	v_add_u32_e32 v26, s40, v25
	v_lshlrev_b32_e32 v25, 2, v26
	v_cmp_gt_u32_e64 s[36:37], s33, v25
	v_mov_b32_e32 v25, 0
	v_lshlrev_b32_e32 v75, 4, v26
	v_mov_b32_e32 v29, 0
	v_mov_b32_e32 v30, 0
	v_mov_b32_e32 v31, 0
	v_mov_b32_e32 v32, 0
	s_and_saveexec_b64 s[8:9], s[36:37]
	s_cbranch_execz .LBB11_14
; %bb.13:
	global_load_dwordx4 v[29:32], v75, s[30:31]
.LBB11_14:
	s_or_b64 exec, exec, s[8:9]
	v_add_u32_e32 v33, s40, v26
	v_lshlrev_b32_e32 v26, 2, v33
	v_cmp_gt_u32_e64 s[38:39], s33, v26
	v_lshlrev_b32_e32 v74, 4, v33
	v_mov_b32_e32 v26, 0
	v_mov_b32_e32 v27, 0
	v_mov_b32_e32 v28, 0
	s_and_saveexec_b64 s[8:9], s[38:39]
	s_cbranch_execz .LBB11_16
; %bb.15:
	global_load_dwordx4 v[25:28], v74, s[30:31]
.LBB11_16:
	s_or_b64 exec, exec, s[8:9]
	v_add_u32_e32 v34, s40, v33
	v_lshlrev_b32_e32 v33, 2, v34
	v_cmp_gt_u32_e64 s[8:9], s33, v33
	v_mov_b32_e32 v33, 0
	v_lshlrev_b32_e32 v76, 4, v34
	v_mov_b32_e32 v37, 0
	v_mov_b32_e32 v38, 0
	v_mov_b32_e32 v39, 0
	v_mov_b32_e32 v40, 0
	s_and_saveexec_b64 s[12:13], s[8:9]
	s_cbranch_execz .LBB11_18
; %bb.17:
	global_load_dwordx4 v[37:40], v76, s[30:31]
.LBB11_18:
	s_or_b64 exec, exec, s[12:13]
	v_add_u32_e32 v41, s40, v34
	v_lshlrev_b32_e32 v34, 2, v41
	v_cmp_gt_u32_e64 s[12:13], s33, v34
	v_lshlrev_b32_e32 v78, 4, v41
	v_mov_b32_e32 v34, 0
	v_mov_b32_e32 v35, 0
	v_mov_b32_e32 v36, 0
	s_and_saveexec_b64 s[14:15], s[12:13]
	s_cbranch_execz .LBB11_20
; %bb.19:
	global_load_dwordx4 v[33:36], v78, s[30:31]
.LBB11_20:
	s_or_b64 exec, exec, s[14:15]
	v_add_u32_e32 v42, s40, v41
	v_lshlrev_b32_e32 v41, 2, v42
	v_cmp_gt_u32_e64 s[14:15], s33, v41
	v_mov_b32_e32 v41, 0
	v_lshlrev_b32_e32 v79, 4, v42
	v_mov_b32_e32 v45, 0
	v_mov_b32_e32 v46, 0
	v_mov_b32_e32 v47, 0
	v_mov_b32_e32 v48, 0
	s_and_saveexec_b64 s[18:19], s[14:15]
	s_cbranch_execz .LBB11_22
; %bb.21:
	global_load_dwordx4 v[45:48], v79, s[30:31]
.LBB11_22:
	s_or_b64 exec, exec, s[18:19]
	v_add_u32_e32 v49, s40, v42
	v_lshlrev_b32_e32 v42, 2, v49
	v_cmp_gt_u32_e64 s[18:19], s33, v42
	v_lshlrev_b32_e32 v81, 4, v49
	v_mov_b32_e32 v42, 0
	v_mov_b32_e32 v43, 0
	v_mov_b32_e32 v44, 0
	s_and_saveexec_b64 s[20:21], s[18:19]
	s_cbranch_execz .LBB11_24
; %bb.23:
	global_load_dwordx4 v[41:44], v81, s[30:31]
.LBB11_24:
	s_or_b64 exec, exec, s[20:21]
	v_add_u32_e32 v54, s40, v49
	v_lshlrev_b32_e32 v49, 2, v54
	v_cmp_gt_u32_e64 s[20:21], s33, v49
	v_mov_b32_e32 v53, 0
	v_lshlrev_b32_e32 v82, 4, v54
	v_mov_b32_e32 v49, 0
	v_mov_b32_e32 v50, 0
	;; [unrolled: 1-line block ×4, first 2 shown]
	s_and_saveexec_b64 s[22:23], s[20:21]
	s_cbranch_execz .LBB11_26
; %bb.25:
	global_load_dwordx4 v[49:52], v82, s[30:31]
.LBB11_26:
	s_or_b64 exec, exec, s[22:23]
	v_add_u32_e32 v65, s40, v54
	v_lshlrev_b32_e32 v54, 2, v65
	v_cmp_gt_u32_e64 s[22:23], s33, v54
	v_mov_b32_e32 v54, 0
	v_mov_b32_e32 v55, 0
	;; [unrolled: 1-line block ×3, first 2 shown]
	s_and_saveexec_b64 s[26:27], s[22:23]
	s_cbranch_execz .LBB11_28
; %bb.27:
	v_mov_b32_e32 v66, 0
	v_lshlrev_b64 v[53:54], 4, v[65:66]
	v_mov_b32_e32 v55, s31
	v_add_co_u32_e64 v53, s[24:25], s30, v53
	v_addc_co_u32_e64 v54, s[24:25], v55, v54, s[24:25]
	global_load_dwordx4 v[53:56], v[53:54], off
.LBB11_28:
	s_or_b64 exec, exec, s[26:27]
	v_add_u32_e32 v67, s40, v65
	v_lshlrev_b32_e32 v57, 2, v67
	v_cmp_gt_u32_e64 s[24:25], s33, v57
	v_mov_b32_e32 v57, 0
	v_mov_b32_e32 v61, 0
	;; [unrolled: 1-line block ×5, first 2 shown]
	s_and_saveexec_b64 s[34:35], s[24:25]
	s_cbranch_execz .LBB11_30
; %bb.29:
	v_mov_b32_e32 v68, 0
	v_lshlrev_b64 v[58:59], 4, v[67:68]
	v_mov_b32_e32 v60, s31
	v_add_co_u32_e64 v58, s[26:27], s30, v58
	v_addc_co_u32_e64 v59, s[26:27], v60, v59, s[26:27]
	global_load_dwordx4 v[61:64], v[58:59], off
.LBB11_30:
	s_or_b64 exec, exec, s[34:35]
	v_add_u32_e32 v69, s40, v67
	v_lshlrev_b32_e32 v58, 2, v69
	v_cmp_gt_u32_e64 s[26:27], s33, v58
	v_mov_b32_e32 v58, 0
	v_mov_b32_e32 v59, 0
	;; [unrolled: 1-line block ×3, first 2 shown]
	s_and_saveexec_b64 s[34:35], s[26:27]
	s_cbranch_execz .LBB11_32
; %bb.31:
	v_mov_b32_e32 v70, 0
	v_lshlrev_b64 v[57:58], 4, v[69:70]
	v_mov_b32_e32 v59, s31
	v_add_co_u32_e64 v57, s[30:31], s30, v57
	v_addc_co_u32_e64 v58, s[30:31], v59, v58, s[30:31]
	global_load_dwordx4 v[57:60], v[57:58], off
.LBB11_32:
	s_or_b64 exec, exec, s[34:35]
	s_waitcnt vmcnt(0)
	v_add_f32_e32 v66, v5, v6
	v_sub_f32_e32 v5, v5, v6
	v_add_f32_e32 v6, v1, v2
	v_sub_f32_e32 v1, v1, v2
	;; [unrolled: 2-line block ×31, first 2 shown]
	v_add_f32_e32 v64, v59, v60
	v_add_f32_e32 v68, v16, v58
	v_sub_f32_e32 v16, v16, v58
	v_add_f32_e32 v58, v12, v36
	v_sub_f32_e32 v12, v12, v36
	;; [unrolled: 2-line block ×9, first 2 shown]
	v_mbcnt_lo_u32_b32 v1, -1, 0
	v_mbcnt_hi_u32_b32 v3, -1, v1
	v_and_b32_e32 v1, 64, v3
	v_sub_f32_e32 v59, v59, v60
	v_add_f32_e32 v60, v66, v30
	v_sub_f32_e32 v30, v66, v30
	v_add_f32_e32 v66, v6, v26
	;; [unrolled: 2-line block ×9, first 2 shown]
	v_sub_f32_e32 v62, v4, v62
	v_add_u32_e32 v4, 64, v1
	v_xor_b32_e32 v1, 1, v3
	s_load_dword s33, s[4:5], 0x20
	v_cmp_lt_i32_e64 s[4:5], v1, v4
	v_cndmask_b32_e64 v1, v3, v1, s[4:5]
	v_lshlrev_b32_e32 v1, 2, v1
	v_add_f32_e32 v84, v13, v15
	v_sub_f32_e32 v13, v13, v15
	v_add_f32_e32 v15, v9, v11
	v_sub_f32_e32 v9, v9, v11
	;; [unrolled: 2-line block ×14, first 2 shown]
	ds_bpermute_b32 v59, v1, v60
	v_and_b32_e32 v85, 1, v0
	v_cmp_eq_u32_e64 s[30:31], 0, v85
	v_cndmask_b32_e64 v60, -v60, v60, s[30:31]
	ds_bpermute_b32 v85, v1, v5
	s_waitcnt lgkmcnt(0)
	v_add_f32_e32 v59, v60, v59
	ds_bpermute_b32 v60, v1, v30
	v_cndmask_b32_e64 v30, -v30, v30, s[30:31]
	v_cndmask_b32_e64 v5, -v5, v5, s[30:31]
	v_add_f32_e32 v5, v5, v85
	ds_bpermute_b32 v85, v1, v7
	s_waitcnt lgkmcnt(1)
	v_add_f32_e32 v30, v30, v60
	ds_bpermute_b32 v60, v1, v66
	v_cndmask_b32_e64 v66, -v66, v66, s[30:31]
	v_cndmask_b32_e64 v7, -v7, v7, s[30:31]
	s_waitcnt lgkmcnt(1)
	v_add_f32_e32 v7, v7, v85
	ds_bpermute_b32 v85, v1, v70
	s_waitcnt lgkmcnt(1)
	v_add_f32_e32 v60, v66, v60
	ds_bpermute_b32 v66, v1, v6
	v_cndmask_b32_e64 v6, -v6, v6, s[30:31]
	v_cndmask_b32_e64 v70, -v70, v70, s[30:31]
	s_waitcnt lgkmcnt(1)
	;; [unrolled: 8-line block ×26, first 2 shown]
	v_add_f32_e32 v53, v53, v85
	ds_bpermute_b32 v85, v1, v55
	s_waitcnt lgkmcnt(1)
	v_add_f32_e32 v32, v32, v2
	ds_bpermute_b32 v2, v1, v52
	v_cndmask_b32_e64 v52, -v52, v52, s[30:31]
	ds_bpermute_b32 v86, v1, v64
	v_cndmask_b32_e64 v55, -v55, v55, s[30:31]
	v_cndmask_b32_e64 v64, -v64, v64, s[30:31]
	s_waitcnt lgkmcnt(1)
	v_add_f32_e32 v52, v52, v2
	ds_bpermute_b32 v2, v1, v28
	v_cndmask_b32_e64 v28, -v28, v28, s[30:31]
	v_add_f32_e32 v55, v55, v85
	ds_bpermute_b32 v85, v1, v61
	s_waitcnt lgkmcnt(2)
	v_add_f32_e32 v64, v64, v86
	s_waitcnt lgkmcnt(1)
	v_add_f32_e32 v28, v28, v2
	ds_bpermute_b32 v2, v1, v56
	v_cndmask_b32_e64 v56, -v56, v56, s[30:31]
	ds_bpermute_b32 v86, v1, v57
	v_cndmask_b32_e64 v61, -v61, v61, s[30:31]
	s_waitcnt lgkmcnt(2)
	v_add_f32_e32 v61, v61, v85
	s_waitcnt lgkmcnt(1)
	v_add_f32_e32 v56, v56, v2
	ds_bpermute_b32 v2, v1, v40
	v_cndmask_b32_e64 v40, -v40, v40, s[30:31]
	ds_bpermute_b32 v85, v1, v63
	v_cndmask_b32_e64 v63, -v63, v63, s[30:31]
	s_waitcnt lgkmcnt(0)
	v_add_f32_e32 v40, v40, v2
	v_cndmask_b32_e64 v2, -v57, v57, s[30:31]
	v_add_f32_e32 v57, v2, v86
	v_xor_b32_e32 v2, 2, v3
	v_cmp_lt_i32_e64 s[4:5], v2, v4
	v_cndmask_b32_e64 v2, v3, v2, s[4:5]
	v_lshlrev_b32_e32 v2, 2, v2
	v_add_f32_e32 v63, v63, v85
	ds_bpermute_b32 v85, v2, v59
	v_and_b32_e32 v86, 2, v0
	v_cmp_eq_u32_e64 s[34:35], 0, v86
	v_cndmask_b32_e64 v59, -v59, v59, s[34:35]
	ds_bpermute_b32 v86, v2, v5
	s_waitcnt lgkmcnt(1)
	v_add_f32_e32 v59, v59, v85
	ds_bpermute_b32 v85, v2, v30
	v_cndmask_b32_e64 v30, -v30, v30, s[34:35]
	v_cndmask_b32_e64 v5, -v5, v5, s[34:35]
	s_waitcnt lgkmcnt(1)
	v_add_f32_e32 v5, v5, v86
	ds_bpermute_b32 v86, v2, v7
	s_waitcnt lgkmcnt(1)
	v_add_f32_e32 v30, v30, v85
	ds_bpermute_b32 v85, v2, v60
	v_cndmask_b32_e64 v60, -v60, v60, s[34:35]
	v_cndmask_b32_e64 v7, -v7, v7, s[34:35]
	s_waitcnt lgkmcnt(1)
	v_add_f32_e32 v7, v7, v86
	;; [unrolled: 8-line block ×28, first 2 shown]
	ds_bpermute_b32 v86, v2, v61
	s_waitcnt lgkmcnt(1)
	v_add_f32_e32 v52, v52, v85
	ds_bpermute_b32 v85, v2, v28
	v_cndmask_b32_e64 v28, -v28, v28, s[34:35]
	ds_bpermute_b32 v87, v2, v64
	v_cndmask_b32_e64 v61, -v61, v61, s[34:35]
	s_waitcnt lgkmcnt(2)
	v_add_f32_e32 v61, v61, v86
	s_waitcnt lgkmcnt(1)
	v_add_f32_e32 v28, v28, v85
	ds_bpermute_b32 v85, v2, v56
	v_cndmask_b32_e64 v56, -v56, v56, s[34:35]
	ds_bpermute_b32 v86, v2, v63
	v_cndmask_b32_e64 v64, -v64, v64, s[34:35]
	s_waitcnt lgkmcnt(2)
	v_add_f32_e32 v64, v64, v87
	;; [unrolled: 8-line block ×3, first 2 shown]
	s_waitcnt lgkmcnt(1)
	v_add_f32_e32 v40, v40, v85
	v_xor_b32_e32 v85, 4, v3
	v_cmp_lt_i32_e64 s[4:5], v85, v4
	v_cndmask_b32_e64 v85, v3, v85, s[4:5]
	v_lshlrev_b32_e32 v85, 2, v85
	ds_bpermute_b32 v86, v85, v59
	v_cndmask_b32_e64 v57, -v57, v57, s[34:35]
	s_waitcnt lgkmcnt(1)
	v_add_f32_e32 v57, v57, v87
	v_and_b32_e32 v87, 4, v0
	v_cmp_eq_u32_e64 s[4:5], 0, v87
	v_cndmask_b32_e64 v59, -v59, v59, s[4:5]
	s_waitcnt lgkmcnt(0)
	v_add_f32_e32 v59, v59, v86
	ds_bpermute_b32 v86, v85, v30
	v_cndmask_b32_e64 v30, -v30, v30, s[4:5]
	ds_bpermute_b32 v87, v85, v5
	v_cndmask_b32_e64 v5, -v5, v5, s[4:5]
	ds_bpermute_b32 v88, v85, v64
	s_waitcnt lgkmcnt(2)
	v_add_f32_e32 v30, v30, v86
	ds_bpermute_b32 v86, v85, v60
	v_cndmask_b32_e64 v60, -v60, v60, s[4:5]
	s_waitcnt lgkmcnt(2)
	v_add_f32_e32 v5, v5, v87
	ds_bpermute_b32 v87, v85, v7
	v_cndmask_b32_e64 v7, -v7, v7, s[4:5]
	;; [unrolled: 4-line block ×58, first 2 shown]
	s_waitcnt lgkmcnt(1)
	v_add_f32_e32 v56, v56, v86
	ds_bpermute_b32 v86, v85, v40
	ds_bpermute_b32 v85, v85, v57
	v_cndmask_b32_e64 v57, -v57, v57, s[4:5]
	v_cndmask_b32_e64 v63, -v63, v63, s[4:5]
	v_cndmask_b32_e64 v40, -v40, v40, s[4:5]
	s_waitcnt lgkmcnt(1)
	v_add_f32_e32 v40, v40, v86
	s_waitcnt lgkmcnt(0)
	v_add_f32_e32 v57, v57, v85
	v_xor_b32_e32 v85, 8, v3
	v_cmp_lt_i32_e64 s[4:5], v85, v4
	v_cndmask_b32_e64 v85, v3, v85, s[4:5]
	v_lshlrev_b32_e32 v85, 2, v85
	ds_bpermute_b32 v86, v85, v59
	v_add_f32_e32 v63, v63, v87
	v_and_b32_e32 v87, 8, v0
	v_cmp_eq_u32_e64 s[4:5], 0, v87
	v_cndmask_b32_e64 v59, -v59, v59, s[4:5]
	s_waitcnt lgkmcnt(0)
	v_add_f32_e32 v59, v59, v86
	ds_bpermute_b32 v86, v85, v30
	v_cndmask_b32_e64 v30, -v30, v30, s[4:5]
	ds_bpermute_b32 v87, v85, v5
	v_cndmask_b32_e64 v5, -v5, v5, s[4:5]
	v_add_f32_e32 v64, v64, v88
	s_waitcnt lgkmcnt(1)
	v_add_f32_e32 v30, v30, v86
	ds_bpermute_b32 v86, v85, v60
	v_cndmask_b32_e64 v60, -v60, v60, s[4:5]
	s_waitcnt lgkmcnt(1)
	v_add_f32_e32 v5, v5, v87
	ds_bpermute_b32 v87, v85, v7
	v_cndmask_b32_e64 v7, -v7, v7, s[4:5]
	;; [unrolled: 4-line block ×57, first 2 shown]
	ds_bpermute_b32 v88, v85, v64
	s_waitcnt lgkmcnt(2)
	v_add_f32_e32 v61, v61, v87
	ds_bpermute_b32 v87, v85, v63
	s_waitcnt lgkmcnt(2)
	v_add_f32_e32 v56, v56, v86
	ds_bpermute_b32 v86, v85, v40
	ds_bpermute_b32 v85, v85, v57
	v_cndmask_b32_e64 v57, -v57, v57, s[4:5]
	v_cndmask_b32_e64 v64, -v64, v64, s[4:5]
	;; [unrolled: 1-line block ×4, first 2 shown]
	s_waitcnt lgkmcnt(0)
	v_add_f32_e32 v57, v57, v85
	v_xor_b32_e32 v85, 16, v3
	v_cmp_lt_i32_e64 s[4:5], v85, v4
	v_cndmask_b32_e64 v85, v3, v85, s[4:5]
	v_lshlrev_b32_e32 v85, 2, v85
	v_add_f32_e32 v40, v40, v86
	ds_bpermute_b32 v86, v85, v59
	v_add_f32_e32 v63, v63, v87
	v_and_b32_e32 v87, 16, v0
	v_cmp_eq_u32_e64 s[4:5], 0, v87
	v_cndmask_b32_e64 v59, -v59, v59, s[4:5]
	s_waitcnt lgkmcnt(0)
	v_add_f32_e32 v59, v59, v86
	ds_bpermute_b32 v86, v85, v30
	ds_bpermute_b32 v87, v85, v5
	v_cndmask_b32_e64 v30, -v30, v30, s[4:5]
	v_add_f32_e32 v64, v64, v88
	v_cndmask_b32_e64 v5, -v5, v5, s[4:5]
	s_waitcnt lgkmcnt(1)
	v_add_f32_e32 v30, v30, v86
	ds_bpermute_b32 v86, v85, v60
	ds_bpermute_b32 v88, v85, v64
	s_waitcnt lgkmcnt(2)
	v_add_f32_e32 v87, v5, v87
	ds_bpermute_b32 v5, v85, v7
	v_cndmask_b32_e64 v60, -v60, v60, s[4:5]
	s_waitcnt lgkmcnt(2)
	v_add_f32_e32 v60, v60, v86
	ds_bpermute_b32 v86, v85, v6
	v_cndmask_b32_e64 v64, -v64, v64, s[4:5]
	v_cndmask_b32_e64 v7, -v7, v7, s[4:5]
	s_waitcnt lgkmcnt(2)
	v_add_f32_e32 v64, v64, v88
	s_waitcnt lgkmcnt(1)
	v_add_f32_e32 v88, v7, v5
	ds_bpermute_b32 v5, v85, v70
	v_cndmask_b32_e64 v6, -v6, v6, s[4:5]
	s_waitcnt lgkmcnt(1)
	v_add_f32_e32 v86, v6, v86
	ds_bpermute_b32 v6, v85, v26
	v_cndmask_b32_e64 v7, -v70, v70, s[4:5]
	;; [unrolled: 4-line block ×54, first 2 shown]
	s_waitcnt lgkmcnt(1)
	v_add_f32_e32 v126, v7, v5
	v_cndmask_b32_e64 v5, -v56, v56, s[4:5]
	ds_bpermute_b32 v7, v85, v63
	s_waitcnt lgkmcnt(1)
	v_add_f32_e32 v127, v5, v6
	ds_bpermute_b32 v5, v85, v40
	ds_bpermute_b32 v8, v85, v57
	v_cndmask_b32_e64 v6, -v63, v63, s[4:5]
	s_waitcnt lgkmcnt(2)
	v_add_f32_e32 v128, v6, v7
	v_cndmask_b32_e64 v6, -v40, v40, s[4:5]
	s_waitcnt lgkmcnt(1)
	v_add_f32_e32 v129, v6, v5
	;; [unrolled: 3-line block ×3, first 2 shown]
	v_xor_b32_e32 v5, 32, v3
	v_cmp_lt_i32_e64 s[4:5], v5, v4
	v_cndmask_b32_e64 v3, v3, v5, s[4:5]
	v_lshlrev_b32_e32 v130, 2, v3
	ds_bpermute_b32 v3, v130, v59
	ds_bpermute_b32 v5, v130, v64
	v_and_b32_e32 v4, 32, v0
	ds_bpermute_b32 v6, v130, v30
	v_cmp_eq_u32_e64 s[4:5], 0, v4
	ds_bpermute_b32 v7, v130, v87
	v_cndmask_b32_e64 v4, -v59, v59, s[4:5]
	ds_bpermute_b32 v8, v130, v60
	s_waitcnt lgkmcnt(4)
	v_add_f32_e32 v3, v4, v3
	v_cndmask_b32_e64 v4, -v64, v64, s[4:5]
	ds_bpermute_b32 v9, v130, v88
	s_waitcnt lgkmcnt(4)
	v_add_f32_e32 v4, v4, v5
	;; [unrolled: 4-line block ×24, first 2 shown]
	v_cndmask_b32_e64 v27, -v42, v42, s[4:5]
	ds_bpermute_b32 v34, v130, v50
	ds_bpermute_b32 v35, v130, v31
	s_waitcnt lgkmcnt(5)
	v_add_f32_e32 v27, v27, v28
	v_cndmask_b32_e64 v28, -v99, v99, s[4:5]
	s_waitcnt lgkmcnt(4)
	v_add_f32_e32 v28, v28, v29
	v_cndmask_b32_e64 v29, -v100, v100, s[4:5]
	;; [unrolled: 3-line block ×4, first 2 shown]
	ds_bpermute_b32 v36, v130, v102
	v_cndmask_b32_e64 v31, -v31, v31, s[4:5]
	s_waitcnt lgkmcnt(2)
	v_add_f32_e32 v33, v33, v34
	s_waitcnt lgkmcnt(1)
	v_add_f32_e32 v34, v31, v35
	ds_bpermute_b32 v31, v130, v103
	v_cndmask_b32_e64 v35, -v102, v102, s[4:5]
	s_waitcnt lgkmcnt(1)
	v_add_f32_e32 v35, v35, v36
	ds_bpermute_b32 v37, v130, v54
	v_cndmask_b32_e64 v36, -v103, v103, s[4:5]
	;; [unrolled: 4-line block ×20, first 2 shown]
	s_waitcnt lgkmcnt(1)
	v_add_f32_e32 v54, v54, v31
	ds_bpermute_b32 v31, v130, v119
	ds_bpermute_b32 v58, v130, v120
	v_cndmask_b32_e64 v56, -v118, v118, s[4:5]
	s_waitcnt lgkmcnt(2)
	v_add_f32_e32 v55, v56, v55
	v_cndmask_b32_e64 v56, -v119, v119, s[4:5]
	s_waitcnt lgkmcnt(1)
	v_add_f32_e32 v56, v56, v31
	ds_bpermute_b32 v31, v130, v121
	v_cndmask_b32_e64 v59, -v120, v120, s[4:5]
	s_waitcnt lgkmcnt(1)
	v_add_f32_e32 v61, v59, v58
	ds_bpermute_b32 v58, v130, v32
	;; [unrolled: 4-line block ×8, first 2 shown]
	v_cndmask_b32_e64 v58, -v126, v126, s[4:5]
	s_waitcnt lgkmcnt(1)
	v_add_f32_e32 v87, v58, v31
	v_cndmask_b32_e64 v31, -v127, v127, s[4:5]
	ds_bpermute_b32 v58, v130, v128
	s_waitcnt lgkmcnt(1)
	v_add_f32_e32 v88, v31, v32
	ds_bpermute_b32 v31, v130, v129
	ds_bpermute_b32 v59, v130, v57
	v_cndmask_b32_e64 v32, -v128, v128, s[4:5]
	s_waitcnt lgkmcnt(2)
	v_add_f32_e32 v89, v32, v58
	v_cndmask_b32_e64 v32, -v129, v129, s[4:5]
	s_waitcnt lgkmcnt(1)
	v_add_f32_e32 v90, v32, v31
	;; [unrolled: 3-line block ×3, first 2 shown]
	v_lshrrev_b32_e32 v31, 6, v0
	v_and_b32_e32 v32, 3, v0
	v_lshrrev_b32_e32 v57, 2, v0
	v_xor_b32_e32 v0, v31, v0
	v_lshl_add_u32 v60, v0, 4, 0
	v_lshl_or_b32 v0, v32, 6, v57
	v_xor_b32_e32 v0, v0, v32
	v_lshl_add_u32 v32, v0, 4, 0
	s_barrier
	ds_write_b128 v60, v[3:6]
	ds_write_b128 v60, v[7:10] offset:4096
	ds_write_b128 v60, v[11:14] offset:8192
	;; [unrolled: 1-line block ×7, first 2 shown]
	s_waitcnt lgkmcnt(0)
	s_barrier
	ds_read_b128 v[3:6], v32
	ds_read_b128 v[7:10], v32 offset:4096
	ds_read_b128 v[11:14], v32 offset:8192
	ds_read_b128 v[15:18], v32 offset:12288
	ds_read_b128 v[19:22], v32 offset:16384
	ds_read_b128 v[23:26], v32 offset:20480
	ds_read_b128 v[27:30], v32 offset:24576
	ds_read_b128 v[33:36], v32 offset:28672
	s_waitcnt lgkmcnt(7)
	ds_bpermute_b32 v0, v1, v3
	ds_bpermute_b32 v31, v1, v4
	v_cndmask_b32_e64 v3, -v3, v3, s[30:31]
	v_cndmask_b32_e64 v4, -v4, v4, s[30:31]
	s_waitcnt lgkmcnt(0)
	v_add_f32_e32 v0, v3, v0
	ds_bpermute_b32 v3, v1, v5
	v_add_f32_e32 v4, v4, v31
	ds_bpermute_b32 v31, v1, v6
	v_cndmask_b32_e64 v5, -v5, v5, s[30:31]
	v_cndmask_b32_e64 v6, -v6, v6, s[30:31]
	s_waitcnt lgkmcnt(1)
	v_add_f32_e32 v5, v5, v3
	ds_bpermute_b32 v3, v1, v7
	s_waitcnt lgkmcnt(1)
	v_add_f32_e32 v6, v6, v31
	ds_bpermute_b32 v31, v1, v8
	v_cndmask_b32_e64 v7, -v7, v7, s[30:31]
	v_cndmask_b32_e64 v8, -v8, v8, s[30:31]
	s_waitcnt lgkmcnt(1)
	v_add_f32_e32 v7, v7, v3
	ds_bpermute_b32 v3, v1, v9
	s_waitcnt lgkmcnt(1)
	;; [unrolled: 8-line block ×14, first 2 shown]
	v_add_f32_e32 v31, v34, v31
	ds_bpermute_b32 v34, v1, v36
	v_cndmask_b32_e64 v35, -v35, v35, s[30:31]
	s_waitcnt lgkmcnt(0)
	s_barrier
	ds_write_b128 v60, v[37:40]
	ds_write_b128 v60, v[41:44] offset:4096
	ds_write_b128 v60, v[45:48] offset:8192
	;; [unrolled: 1-line block ×7, first 2 shown]
	s_waitcnt lgkmcnt(0)
	s_barrier
	ds_read_b128 v[37:40], v32
	ds_read_b128 v[41:44], v32 offset:4096
	ds_read_b128 v[45:48], v32 offset:8192
	;; [unrolled: 1-line block ×5, first 2 shown]
	v_add_f32_e32 v35, v35, v3
	s_waitcnt lgkmcnt(5)
	ds_bpermute_b32 v3, v1, v37
	v_cndmask_b32_e64 v36, -v36, v36, s[30:31]
	v_add_f32_e32 v36, v36, v34
	ds_bpermute_b32 v34, v1, v38
	v_cndmask_b32_e64 v37, -v37, v37, s[30:31]
	s_waitcnt lgkmcnt(1)
	v_add_f32_e32 v37, v37, v3
	ds_bpermute_b32 v3, v1, v39
	v_cndmask_b32_e64 v38, -v38, v38, s[30:31]
	s_waitcnt lgkmcnt(1)
	;; [unrolled: 4-line block ×21, first 2 shown]
	v_add_f32_e32 v57, v57, v3
	ds_bpermute_b32 v3, v1, v63
	ds_read_b128 v[84:87], v32 offset:24576
	ds_read_b128 v[88:91], v32 offset:28672
	v_cndmask_b32_e64 v58, -v62, v62, s[30:31]
	s_waitcnt lgkmcnt(3)
	v_add_f32_e32 v58, v58, v34
	ds_bpermute_b32 v34, v1, v64
	v_cndmask_b32_e64 v59, -v63, v63, s[30:31]
	s_waitcnt lgkmcnt(3)
	v_add_f32_e32 v59, v59, v3
	s_waitcnt lgkmcnt(2)
	ds_bpermute_b32 v3, v1, v84
	v_cndmask_b32_e64 v61, -v64, v64, s[30:31]
	s_waitcnt lgkmcnt(1)
	v_add_f32_e32 v64, v61, v34
	ds_bpermute_b32 v34, v1, v85
	v_cndmask_b32_e64 v61, -v84, v84, s[30:31]
	s_waitcnt lgkmcnt(1)
	v_add_f32_e32 v66, v61, v3
	;; [unrolled: 4-line block ×69, first 2 shown]
	v_cndmask_b32_e64 v31, -v88, v88, s[34:35]
	ds_bpermute_b32 v57, v2, v89
	s_waitcnt lgkmcnt(1)
	v_add_f32_e32 v88, v31, v0
	ds_bpermute_b32 v0, v2, v90
	ds_bpermute_b32 v2, v2, v1
	v_cndmask_b32_e64 v31, -v89, v89, s[34:35]
	s_waitcnt lgkmcnt(2)
	v_add_f32_e32 v89, v31, v57
	v_cndmask_b32_e64 v31, -v90, v90, s[34:35]
	s_waitcnt lgkmcnt(1)
	v_add_f32_e32 v90, v31, v0
	;; [unrolled: 3-line block ×3, first 2 shown]
	s_barrier
	ds_write_b128 v32, v[3:6]
	ds_write_b128 v32, v[7:10] offset:4096
	ds_write_b128 v32, v[11:14] offset:8192
	;; [unrolled: 1-line block ×7, first 2 shown]
	s_waitcnt lgkmcnt(0)
	s_barrier
	ds_read_b128 v[24:27], v60
	ds_read_b128 v[28:31], v60 offset:4096
	ds_read_b128 v[16:19], v60 offset:8192
	;; [unrolled: 1-line block ×7, first 2 shown]
	s_waitcnt lgkmcnt(0)
	s_barrier
	ds_write_b128 v32, v[37:40]
	ds_write_b128 v32, v[41:44] offset:4096
	ds_write_b128 v32, v[45:48] offset:8192
	;; [unrolled: 1-line block ×7, first 2 shown]
	s_waitcnt lgkmcnt(0)
	s_barrier
	ds_read_b128 v[48:51], v60
	ds_read_b128 v[52:55], v60 offset:4096
	ds_read_b128 v[40:43], v60 offset:8192
	ds_read_b128 v[44:47], v60 offset:12288
	ds_read_b128 v[32:35], v60 offset:16384
	ds_read_b128 v[36:39], v60 offset:20480
	ds_read_b128 v[56:59], v60 offset:24576
	ds_read_b128 v[60:63], v60 offset:28672
	s_mul_i32 s4, s46, s7
	s_mul_hi_u32 s5, s46, s6
	s_add_i32 s4, s5, s4
	s_mul_i32 s5, s47, s6
	s_add_i32 s5, s4, s5
	s_mul_i32 s4, s46, s6
	v_add_f32_e32 v100, v24, v28
	v_add_f32_e32 v101, v25, v29
	;; [unrolled: 1-line block ×16, first 2 shown]
	s_waitcnt lgkmcnt(6)
	v_add_f32_e32 v120, v48, v52
	v_add_f32_e32 v121, v49, v53
	;; [unrolled: 1-line block ×4, first 2 shown]
	s_waitcnt lgkmcnt(4)
	v_add_f32_e32 v124, v40, v44
	v_add_f32_e32 v125, v41, v45
	v_add_f32_e32 v126, v42, v46
	s_lshl_b64 s[4:5], s[4:5], 2
	v_add_f32_e32 v127, v43, v47
	s_waitcnt lgkmcnt(2)
	v_add_f32_e32 v128, v32, v36
	v_add_f32_e32 v129, v33, v37
	;; [unrolled: 1-line block ×4, first 2 shown]
	s_waitcnt lgkmcnt(0)
	v_add_f32_e32 v132, v56, v60
	v_add_f32_e32 v133, v57, v61
	;; [unrolled: 1-line block ×4, first 2 shown]
	s_add_u32 s4, s42, s4
	v_add_f32_e32 v88, v100, v108
	v_add_f32_e32 v89, v101, v109
	;; [unrolled: 1-line block ×16, first 2 shown]
	s_addc_u32 s5, s43, s5
	v_add_f32_e32 v64, v88, v92
	v_add_f32_e32 v66, v89, v93
	;; [unrolled: 1-line block ×8, first 2 shown]
	s_and_saveexec_b64 s[6:7], s[28:29]
	s_cbranch_execz .LBB11_34
; %bb.33:
	v_add_f32_e32 v136, v87, v70
	v_add_f32_e32 v137, v86, v68
	;; [unrolled: 1-line block ×4, first 2 shown]
	v_mul_f32_e32 v139, s33, v136
	v_mul_f32_e32 v138, s33, v137
	;; [unrolled: 1-line block ×4, first 2 shown]
	global_store_dwordx4 v83, v[136:139], s[4:5]
.LBB11_34:
	s_or_b64 exec, exec, s[6:7]
	v_sub_f32_e32 v24, v24, v28
	v_sub_f32_e32 v25, v25, v29
	v_sub_f32_e32 v26, v26, v30
	v_sub_f32_e32 v27, v27, v31
	v_sub_f32_e32 v16, v16, v20
	v_sub_f32_e32 v17, v17, v21
	v_sub_f32_e32 v18, v18, v22
	v_sub_f32_e32 v19, v19, v23
	v_sub_f32_e32 v20, v8, v12
	v_sub_f32_e32 v21, v9, v13
	v_sub_f32_e32 v22, v10, v14
	v_sub_f32_e32 v23, v11, v15
	v_sub_f32_e32 v28, v0, v4
	v_sub_f32_e32 v29, v1, v5
	v_sub_f32_e32 v30, v2, v6
	v_sub_f32_e32 v31, v3, v7
	v_sub_f32_e32 v52, v48, v52
	v_sub_f32_e32 v53, v49, v53
	v_sub_f32_e32 v54, v50, v54
	v_sub_f32_e32 v55, v51, v55
	v_sub_f32_e32 v40, v40, v44
	v_sub_f32_e32 v41, v41, v45
	v_sub_f32_e32 v42, v42, v46
	v_sub_f32_e32 v43, v43, v47
	v_sub_f32_e32 v136, v32, v36
	v_sub_f32_e32 v137, v33, v37
	v_sub_f32_e32 v138, v34, v38
	v_sub_f32_e32 v139, v35, v39
	v_sub_f32_e32 v140, v56, v60
	v_sub_f32_e32 v141, v57, v61
	v_sub_f32_e32 v142, v58, v62
	v_sub_f32_e32 v143, v59, v63
	v_add_f32_e32 v32, v24, v16
	v_add_f32_e32 v33, v25, v17
	;; [unrolled: 1-line block ×24, first 2 shown]
	s_and_saveexec_b64 s[6:7], s[16:17]
	s_cbranch_execz .LBB11_36
; %bb.35:
	v_add_f32_e32 v8, v4, v0
	v_add_f32_e32 v9, v5, v1
	;; [unrolled: 1-line block ×4, first 2 shown]
	v_mul_f32_e32 v8, s33, v8
	v_mul_f32_e32 v9, s33, v9
	;; [unrolled: 1-line block ×4, first 2 shown]
	global_store_dwordx4 v80, v[8:11], s[4:5]
.LBB11_36:
	s_or_b64 exec, exec, s[6:7]
	v_sub_f32_e32 v56, v100, v108
	v_sub_f32_e32 v57, v101, v109
	;; [unrolled: 1-line block ×16, first 2 shown]
	v_add_f32_e32 v8, v56, v60
	v_add_f32_e32 v9, v57, v61
	;; [unrolled: 1-line block ×8, first 2 shown]
	s_and_saveexec_b64 s[6:7], s[10:11]
	s_cbranch_execz .LBB11_38
; %bb.37:
	v_add_f32_e32 v110, v12, v8
	v_add_f32_e32 v111, v13, v9
	;; [unrolled: 1-line block ×4, first 2 shown]
	v_mul_f32_e32 v110, s33, v110
	v_mul_f32_e32 v111, s33, v111
	;; [unrolled: 1-line block ×4, first 2 shown]
	global_store_dwordx4 v77, v[110:113], s[4:5]
.LBB11_38:
	s_or_b64 exec, exec, s[6:7]
	v_sub_f32_e32 v77, v24, v16
	v_sub_f32_e32 v110, v25, v17
	v_sub_f32_e32 v111, v26, v18
	v_sub_f32_e32 v112, v27, v19
	v_sub_f32_e32 v113, v20, v28
	v_sub_f32_e32 v114, v21, v29
	v_sub_f32_e32 v115, v22, v30
	v_sub_f32_e32 v116, v23, v31
	v_sub_f32_e32 v117, v52, v40
	v_sub_f32_e32 v118, v53, v41
	v_sub_f32_e32 v119, v54, v42
	v_sub_f32_e32 v120, v55, v43
	v_sub_f32_e32 v121, v136, v140
	v_sub_f32_e32 v122, v137, v141
	v_sub_f32_e32 v123, v138, v142
	v_sub_f32_e32 v124, v139, v143
	v_add_f32_e32 v16, v77, v113
	v_add_f32_e32 v17, v110, v114
	;; [unrolled: 1-line block ×8, first 2 shown]
	s_and_saveexec_b64 s[6:7], vcc
	s_cbranch_execz .LBB11_40
; %bb.39:
	v_add_f32_e32 v24, v20, v16
	v_add_f32_e32 v25, v21, v17
	v_add_f32_e32 v26, v22, v18
	v_add_f32_e32 v27, v23, v19
	v_mul_f32_e32 v24, s33, v24
	v_mul_f32_e32 v25, s33, v25
	v_mul_f32_e32 v26, s33, v26
	v_mul_f32_e32 v27, s33, v27
	global_store_dwordx4 v71, v[24:27], s[4:5]
.LBB11_40:
	s_or_b64 exec, exec, s[6:7]
	v_sub_f32_e32 v24, v88, v92
	v_sub_f32_e32 v25, v89, v93
	v_sub_f32_e32 v26, v90, v94
	v_sub_f32_e32 v27, v91, v95
	v_sub_f32_e32 v28, v96, v104
	v_sub_f32_e32 v29, v97, v105
	v_sub_f32_e32 v30, v98, v106
	v_sub_f32_e32 v31, v99, v107
	s_and_saveexec_b64 s[6:7], s[0:1]
	s_cbranch_execz .LBB11_42
; %bb.41:
	v_add_f32_e32 v40, v24, v28
	v_add_f32_e32 v41, v25, v29
	v_add_f32_e32 v42, v26, v30
	v_add_f32_e32 v43, v27, v31
	v_mul_f32_e32 v40, s33, v40
	v_mul_f32_e32 v41, s33, v41
	v_mul_f32_e32 v42, s33, v42
	v_mul_f32_e32 v43, s33, v43
	global_store_dwordx4 v73, v[40:43], s[4:5]
.LBB11_42:
	s_or_b64 exec, exec, s[6:7]
	v_sub_f32_e32 v40, v32, v36
	v_sub_f32_e32 v41, v33, v37
	v_sub_f32_e32 v42, v34, v38
	v_sub_f32_e32 v43, v35, v39
	v_sub_f32_e32 v52, v44, v48
	v_sub_f32_e32 v53, v45, v49
	v_sub_f32_e32 v54, v46, v50
	v_sub_f32_e32 v55, v47, v51
	s_and_saveexec_b64 s[0:1], s[2:3]
	;; [unrolled: 22-line block ×4, first 2 shown]
	s_cbranch_execnz .LBB11_56
; %bb.47:
	s_or_b64 exec, exec, s[0:1]
	s_and_saveexec_b64 s[0:1], s[8:9]
	s_cbranch_execnz .LBB11_57
.LBB11_48:
	s_or_b64 exec, exec, s[0:1]
	s_and_saveexec_b64 s[0:1], s[12:13]
	s_cbranch_execnz .LBB11_58
.LBB11_49:
	s_or_b64 exec, exec, s[0:1]
	s_and_saveexec_b64 s[0:1], s[14:15]
	s_cbranch_execnz .LBB11_59
.LBB11_50:
	s_or_b64 exec, exec, s[0:1]
	s_and_saveexec_b64 s[0:1], s[18:19]
	s_cbranch_execnz .LBB11_60
.LBB11_51:
	s_or_b64 exec, exec, s[0:1]
	s_and_saveexec_b64 s[0:1], s[20:21]
	s_cbranch_execnz .LBB11_61
.LBB11_52:
	s_or_b64 exec, exec, s[0:1]
	s_and_saveexec_b64 s[0:1], s[22:23]
	s_cbranch_execnz .LBB11_62
.LBB11_53:
	s_or_b64 exec, exec, s[0:1]
	s_and_saveexec_b64 s[0:1], s[24:25]
	s_cbranch_execnz .LBB11_63
.LBB11_54:
	s_or_b64 exec, exec, s[0:1]
	s_and_saveexec_b64 s[0:1], s[26:27]
	s_cbranch_execnz .LBB11_64
.LBB11_55:
	s_endpgm
.LBB11_56:
	v_add_f32_e32 v56, v32, v44
	v_add_f32_e32 v57, v33, v45
	;; [unrolled: 1-line block ×4, first 2 shown]
	v_mul_f32_e32 v56, s33, v56
	v_mul_f32_e32 v57, s33, v57
	;; [unrolled: 1-line block ×4, first 2 shown]
	global_store_dwordx4 v74, v[56:59], s[4:5]
	s_or_b64 exec, exec, s[0:1]
	s_and_saveexec_b64 s[0:1], s[8:9]
	s_cbranch_execz .LBB11_48
.LBB11_57:
	v_sub_f32_e32 v56, v64, v84
	v_sub_f32_e32 v57, v66, v85
	;; [unrolled: 1-line block ×4, first 2 shown]
	v_mul_f32_e32 v56, s33, v56
	v_mul_f32_e32 v57, s33, v57
	;; [unrolled: 1-line block ×4, first 2 shown]
	global_store_dwordx4 v76, v[56:59], s[4:5]
	s_or_b64 exec, exec, s[0:1]
	s_and_saveexec_b64 s[0:1], s[12:13]
	s_cbranch_execz .LBB11_49
.LBB11_58:
	v_sub_f32_e32 v0, v0, v4
	v_sub_f32_e32 v1, v1, v5
	v_sub_f32_e32 v2, v2, v6
	v_sub_f32_e32 v3, v3, v7
	v_mul_f32_e32 v0, s33, v0
	v_mul_f32_e32 v1, s33, v1
	;; [unrolled: 1-line block ×4, first 2 shown]
	global_store_dwordx4 v78, v[0:3], s[4:5]
	s_or_b64 exec, exec, s[0:1]
	s_and_saveexec_b64 s[0:1], s[14:15]
	s_cbranch_execz .LBB11_50
.LBB11_59:
	v_sub_f32_e32 v0, v8, v12
	v_sub_f32_e32 v1, v9, v13
	;; [unrolled: 1-line block ×4, first 2 shown]
	v_mul_f32_e32 v0, s33, v0
	v_mul_f32_e32 v1, s33, v1
	v_mul_f32_e32 v2, s33, v2
	v_mul_f32_e32 v3, s33, v3
	global_store_dwordx4 v79, v[0:3], s[4:5]
	s_or_b64 exec, exec, s[0:1]
	s_and_saveexec_b64 s[0:1], s[18:19]
	s_cbranch_execz .LBB11_51
.LBB11_60:
	v_sub_f32_e32 v0, v16, v20
	v_sub_f32_e32 v1, v17, v21
	;; [unrolled: 1-line block ×4, first 2 shown]
	v_mul_f32_e32 v0, s33, v0
	v_mul_f32_e32 v1, s33, v1
	v_mul_f32_e32 v2, s33, v2
	v_mul_f32_e32 v3, s33, v3
	global_store_dwordx4 v81, v[0:3], s[4:5]
	s_or_b64 exec, exec, s[0:1]
	s_and_saveexec_b64 s[0:1], s[20:21]
	s_cbranch_execz .LBB11_52
.LBB11_61:
	v_sub_f32_e32 v0, v24, v28
	v_sub_f32_e32 v1, v25, v29
	v_sub_f32_e32 v2, v26, v30
	v_sub_f32_e32 v3, v27, v31
	v_mul_f32_e32 v0, s33, v0
	v_mul_f32_e32 v1, s33, v1
	;; [unrolled: 1-line block ×4, first 2 shown]
	global_store_dwordx4 v82, v[0:3], s[4:5]
	s_or_b64 exec, exec, s[0:1]
	s_and_saveexec_b64 s[0:1], s[22:23]
	s_cbranch_execz .LBB11_53
.LBB11_62:
	v_mov_b32_e32 v66, 0
	v_lshlrev_b64 v[4:5], 4, v[65:66]
	v_sub_f32_e32 v0, v40, v52
	v_sub_f32_e32 v1, v41, v53
	;; [unrolled: 1-line block ×4, first 2 shown]
	v_mov_b32_e32 v6, s5
	v_add_co_u32_e32 v4, vcc, s4, v4
	v_mul_f32_e32 v0, s33, v0
	v_mul_f32_e32 v1, s33, v1
	;; [unrolled: 1-line block ×4, first 2 shown]
	v_addc_co_u32_e32 v5, vcc, v6, v5, vcc
	global_store_dwordx4 v[4:5], v[0:3], off
	s_or_b64 exec, exec, s[0:1]
	s_and_saveexec_b64 s[0:1], s[24:25]
	s_cbranch_execz .LBB11_54
.LBB11_63:
	v_mov_b32_e32 v68, 0
	v_lshlrev_b64 v[4:5], 4, v[67:68]
	v_sub_f32_e32 v0, v36, v48
	v_sub_f32_e32 v1, v37, v49
	;; [unrolled: 1-line block ×4, first 2 shown]
	v_mov_b32_e32 v6, s5
	v_add_co_u32_e32 v4, vcc, s4, v4
	v_mul_f32_e32 v0, s33, v0
	v_mul_f32_e32 v1, s33, v1
	;; [unrolled: 1-line block ×4, first 2 shown]
	v_addc_co_u32_e32 v5, vcc, v6, v5, vcc
	global_store_dwordx4 v[4:5], v[0:3], off
	s_or_b64 exec, exec, s[0:1]
	s_and_saveexec_b64 s[0:1], s[26:27]
	s_cbranch_execz .LBB11_55
.LBB11_64:
	v_mov_b32_e32 v70, 0
	v_lshlrev_b64 v[4:5], 4, v[69:70]
	v_sub_f32_e32 v0, v32, v44
	v_sub_f32_e32 v1, v33, v45
	;; [unrolled: 1-line block ×4, first 2 shown]
	v_mov_b32_e32 v6, s5
	v_add_co_u32_e32 v4, vcc, s4, v4
	v_mul_f32_e32 v0, s33, v0
	v_mul_f32_e32 v1, s33, v1
	;; [unrolled: 1-line block ×4, first 2 shown]
	v_addc_co_u32_e32 v5, vcc, v6, v5, vcc
	global_store_dwordx4 v[4:5], v[0:3], off
	s_endpgm
	.section	.rodata,"a",@progbits
	.p2align	6, 0x0
	.amdhsa_kernel _Z30fast_hadamard_transform_kernelI37fast_hadamard_transform_kernel_traitsILi256ELi14EfEEv18HadamardParamsBase
		.amdhsa_group_segment_fixed_size 0
		.amdhsa_private_segment_fixed_size 0
		.amdhsa_kernarg_size 312
		.amdhsa_user_sgpr_count 6
		.amdhsa_user_sgpr_private_segment_buffer 1
		.amdhsa_user_sgpr_dispatch_ptr 0
		.amdhsa_user_sgpr_queue_ptr 0
		.amdhsa_user_sgpr_kernarg_segment_ptr 1
		.amdhsa_user_sgpr_dispatch_id 0
		.amdhsa_user_sgpr_flat_scratch_init 0
		.amdhsa_user_sgpr_private_segment_size 0
		.amdhsa_uses_dynamic_stack 0
		.amdhsa_system_sgpr_private_segment_wavefront_offset 0
		.amdhsa_system_sgpr_workgroup_id_x 1
		.amdhsa_system_sgpr_workgroup_id_y 0
		.amdhsa_system_sgpr_workgroup_id_z 0
		.amdhsa_system_sgpr_workgroup_info 0
		.amdhsa_system_vgpr_workitem_id 0
		.amdhsa_next_free_vgpr 144
		.amdhsa_next_free_sgpr 48
		.amdhsa_reserve_vcc 1
		.amdhsa_reserve_flat_scratch 0
		.amdhsa_float_round_mode_32 0
		.amdhsa_float_round_mode_16_64 0
		.amdhsa_float_denorm_mode_32 3
		.amdhsa_float_denorm_mode_16_64 3
		.amdhsa_dx10_clamp 1
		.amdhsa_ieee_mode 1
		.amdhsa_fp16_overflow 0
		.amdhsa_exception_fp_ieee_invalid_op 0
		.amdhsa_exception_fp_denorm_src 0
		.amdhsa_exception_fp_ieee_div_zero 0
		.amdhsa_exception_fp_ieee_overflow 0
		.amdhsa_exception_fp_ieee_underflow 0
		.amdhsa_exception_fp_ieee_inexact 0
		.amdhsa_exception_int_div_zero 0
	.end_amdhsa_kernel
	.section	.text._Z30fast_hadamard_transform_kernelI37fast_hadamard_transform_kernel_traitsILi256ELi14EfEEv18HadamardParamsBase,"axG",@progbits,_Z30fast_hadamard_transform_kernelI37fast_hadamard_transform_kernel_traitsILi256ELi14EfEEv18HadamardParamsBase,comdat
.Lfunc_end11:
	.size	_Z30fast_hadamard_transform_kernelI37fast_hadamard_transform_kernel_traitsILi256ELi14EfEEv18HadamardParamsBase, .Lfunc_end11-_Z30fast_hadamard_transform_kernelI37fast_hadamard_transform_kernel_traitsILi256ELi14EfEEv18HadamardParamsBase
                                        ; -- End function
	.set _Z30fast_hadamard_transform_kernelI37fast_hadamard_transform_kernel_traitsILi256ELi14EfEEv18HadamardParamsBase.num_vgpr, 144
	.set _Z30fast_hadamard_transform_kernelI37fast_hadamard_transform_kernel_traitsILi256ELi14EfEEv18HadamardParamsBase.num_agpr, 0
	.set _Z30fast_hadamard_transform_kernelI37fast_hadamard_transform_kernel_traitsILi256ELi14EfEEv18HadamardParamsBase.numbered_sgpr, 48
	.set _Z30fast_hadamard_transform_kernelI37fast_hadamard_transform_kernel_traitsILi256ELi14EfEEv18HadamardParamsBase.num_named_barrier, 0
	.set _Z30fast_hadamard_transform_kernelI37fast_hadamard_transform_kernel_traitsILi256ELi14EfEEv18HadamardParamsBase.private_seg_size, 0
	.set _Z30fast_hadamard_transform_kernelI37fast_hadamard_transform_kernel_traitsILi256ELi14EfEEv18HadamardParamsBase.uses_vcc, 1
	.set _Z30fast_hadamard_transform_kernelI37fast_hadamard_transform_kernel_traitsILi256ELi14EfEEv18HadamardParamsBase.uses_flat_scratch, 0
	.set _Z30fast_hadamard_transform_kernelI37fast_hadamard_transform_kernel_traitsILi256ELi14EfEEv18HadamardParamsBase.has_dyn_sized_stack, 0
	.set _Z30fast_hadamard_transform_kernelI37fast_hadamard_transform_kernel_traitsILi256ELi14EfEEv18HadamardParamsBase.has_recursion, 0
	.set _Z30fast_hadamard_transform_kernelI37fast_hadamard_transform_kernel_traitsILi256ELi14EfEEv18HadamardParamsBase.has_indirect_call, 0
	.section	.AMDGPU.csdata,"",@progbits
; Kernel info:
; codeLenInByte = 16508
; TotalNumSgprs: 52
; NumVgprs: 144
; ScratchSize: 0
; MemoryBound: 0
; FloatMode: 240
; IeeeMode: 1
; LDSByteSize: 0 bytes/workgroup (compile time only)
; SGPRBlocks: 6
; VGPRBlocks: 35
; NumSGPRsForWavesPerEU: 52
; NumVGPRsForWavesPerEU: 144
; Occupancy: 1
; WaveLimiterHint : 0
; COMPUTE_PGM_RSRC2:SCRATCH_EN: 0
; COMPUTE_PGM_RSRC2:USER_SGPR: 6
; COMPUTE_PGM_RSRC2:TRAP_HANDLER: 0
; COMPUTE_PGM_RSRC2:TGID_X_EN: 1
; COMPUTE_PGM_RSRC2:TGID_Y_EN: 0
; COMPUTE_PGM_RSRC2:TGID_Z_EN: 0
; COMPUTE_PGM_RSRC2:TIDIG_COMP_CNT: 0
	.section	.text._Z30fast_hadamard_transform_kernelI37fast_hadamard_transform_kernel_traitsILi256ELi15EfEEv18HadamardParamsBase,"axG",@progbits,_Z30fast_hadamard_transform_kernelI37fast_hadamard_transform_kernel_traitsILi256ELi15EfEEv18HadamardParamsBase,comdat
	.protected	_Z30fast_hadamard_transform_kernelI37fast_hadamard_transform_kernel_traitsILi256ELi15EfEEv18HadamardParamsBase ; -- Begin function _Z30fast_hadamard_transform_kernelI37fast_hadamard_transform_kernel_traitsILi256ELi15EfEEv18HadamardParamsBase
	.globl	_Z30fast_hadamard_transform_kernelI37fast_hadamard_transform_kernel_traitsILi256ELi15EfEEv18HadamardParamsBase
	.p2align	8
	.type	_Z30fast_hadamard_transform_kernelI37fast_hadamard_transform_kernel_traitsILi256ELi15EfEEv18HadamardParamsBase,@function
_Z30fast_hadamard_transform_kernelI37fast_hadamard_transform_kernel_traitsILi256ELi15EfEEv18HadamardParamsBase: ; @_Z30fast_hadamard_transform_kernelI37fast_hadamard_transform_kernel_traitsILi256ELi15EfEEv18HadamardParamsBase
; %bb.0:
	s_mov_b64 s[82:83], s[2:3]
	s_mov_b64 s[80:81], s[0:1]
	s_load_dwordx4 s[76:79], s[4:5], 0x10
	s_load_dword s33, s[4:5], 0x4
	s_load_dwordx4 s[72:75], s[4:5], 0x28
	s_add_u32 s80, s80, s7
	s_addc_u32 s81, s81, 0
	s_ashr_i32 s7, s6, 31
	s_waitcnt lgkmcnt(0)
	s_mul_hi_u32 s0, s76, s6
	s_mul_i32 s1, s76, s7
	s_add_i32 s0, s0, s1
	s_mul_i32 s1, s77, s6
	s_load_dword s2, s[4:5], 0x44
	s_add_i32 s1, s0, s1
	s_mul_i32 s0, s76, s6
	s_lshl_b64 s[0:1], s[0:1], 2
	s_add_u32 s64, s72, s0
	v_lshlrev_b32_e32 v1, 2, v0
	s_addc_u32 s65, s73, s1
	v_cmp_gt_u32_e64 s[62:63], s33, v1
	v_mov_b32_e32 v1, 0
	v_lshlrev_b32_e32 v2, 4, v0
	v_mov_b32_e32 v5, 0
	v_mov_b32_e32 v6, 0
	;; [unrolled: 1-line block ×4, first 2 shown]
	buffer_store_dword v2, off, s[80:83], 0 offset:204 ; 4-byte Folded Spill
	s_and_saveexec_b64 s[0:1], s[62:63]
	s_cbranch_execz .LBB12_2
; %bb.1:
	v_lshlrev_b32_e32 v2, 4, v0
	global_load_dwordx4 v[5:8], v2, s[64:65]
.LBB12_2:
	s_or_b64 exec, exec, s[0:1]
	s_waitcnt lgkmcnt(0)
	s_and_b32 s72, 0xffff, s2
	v_add_u32_e32 v9, s72, v0
	v_lshlrev_b32_e32 v2, 2, v9
	v_cmp_gt_u32_e64 s[60:61], s33, v2
	v_lshlrev_b32_e32 v2, 4, v9
	buffer_store_dword v2, off, s[80:83], 0 offset:200 ; 4-byte Folded Spill
	v_mov_b32_e32 v2, 0
	v_mov_b32_e32 v3, 0
	v_mov_b32_e32 v4, 0
	s_and_saveexec_b64 s[0:1], s[60:61]
	s_cbranch_execz .LBB12_4
; %bb.3:
	v_lshlrev_b32_e32 v1, 4, v9
	global_load_dwordx4 v[1:4], v1, s[64:65]
.LBB12_4:
	s_or_b64 exec, exec, s[0:1]
	v_add_u32_e32 v10, s72, v9
	v_lshlrev_b32_e32 v9, 2, v10
	v_cmp_gt_u32_e64 s[54:55], s33, v9
	v_mov_b32_e32 v9, 0
	v_lshlrev_b32_e32 v11, 4, v10
	v_mov_b32_e32 v13, 0
	v_mov_b32_e32 v14, 0
	v_mov_b32_e32 v15, 0
	v_mov_b32_e32 v16, 0
	buffer_store_dword v11, off, s[80:83], 0 offset:188 ; 4-byte Folded Spill
	s_and_saveexec_b64 s[0:1], s[54:55]
	s_cbranch_execz .LBB12_6
; %bb.5:
	v_lshlrev_b32_e32 v11, 4, v10
	global_load_dwordx4 v[13:16], v11, s[64:65]
.LBB12_6:
	s_or_b64 exec, exec, s[0:1]
	v_add_u32_e32 v17, s72, v10
	v_lshlrev_b32_e32 v10, 2, v17
	v_cmp_gt_u32_e64 s[38:39], s33, v10
	v_lshlrev_b32_e32 v10, 4, v17
	buffer_store_dword v10, off, s[80:83], 0 offset:136 ; 4-byte Folded Spill
	v_mov_b32_e32 v10, 0
	v_mov_b32_e32 v11, 0
	v_mov_b32_e32 v12, 0
	s_and_saveexec_b64 s[0:1], s[38:39]
	s_cbranch_execz .LBB12_8
; %bb.7:
	v_lshlrev_b32_e32 v9, 4, v17
	global_load_dwordx4 v[9:12], v9, s[64:65]
.LBB12_8:
	s_or_b64 exec, exec, s[0:1]
	v_add_u32_e32 v18, s72, v17
	v_lshlrev_b32_e32 v17, 2, v18
	v_cmp_gt_u32_e64 s[30:31], s33, v17
	v_mov_b32_e32 v17, 0
	v_lshlrev_b32_e32 v19, 4, v18
	v_mov_b32_e32 v21, 0
	v_mov_b32_e32 v22, 0
	v_mov_b32_e32 v23, 0
	v_mov_b32_e32 v24, 0
	buffer_store_dword v19, off, s[80:83], 0 offset:116 ; 4-byte Folded Spill
	s_and_saveexec_b64 s[0:1], s[30:31]
	s_cbranch_execz .LBB12_10
; %bb.9:
	v_lshlrev_b32_e32 v19, 4, v18
	global_load_dwordx4 v[21:24], v19, s[64:65]
.LBB12_10:
	s_or_b64 exec, exec, s[0:1]
	;; [unrolled: 32-line block ×3, first 2 shown]
	v_add_u32_e32 v33, s72, v26
	v_lshlrev_b32_e32 v26, 2, v33
	v_cmp_gt_u32_e32 vcc, s33, v26
	v_lshlrev_b32_e32 v26, 4, v33
	buffer_store_dword v26, off, s[80:83], 0 offset:28 ; 4-byte Folded Spill
	v_mov_b32_e32 v26, 0
	v_mov_b32_e32 v27, 0
	;; [unrolled: 1-line block ×3, first 2 shown]
	s_and_saveexec_b64 s[0:1], vcc
	s_cbranch_execz .LBB12_16
; %bb.15:
	v_lshlrev_b32_e32 v25, 4, v33
	global_load_dwordx4 v[25:28], v25, s[64:65]
.LBB12_16:
	s_or_b64 exec, exec, s[0:1]
	v_add_u32_e32 v34, s72, v33
	v_lshlrev_b32_e32 v33, 2, v34
	v_cmp_gt_u32_e64 s[0:1], s33, v33
	v_mov_b32_e32 v33, 0
	v_lshlrev_b32_e32 v35, 4, v34
	v_mov_b32_e32 v37, 0
	v_mov_b32_e32 v38, 0
	;; [unrolled: 1-line block ×4, first 2 shown]
	buffer_store_dword v35, off, s[80:83], 0 offset:44 ; 4-byte Folded Spill
	s_and_saveexec_b64 s[2:3], s[0:1]
	s_cbranch_execz .LBB12_18
; %bb.17:
	v_lshlrev_b32_e32 v35, 4, v34
	global_load_dwordx4 v[37:40], v35, s[64:65]
.LBB12_18:
	s_or_b64 exec, exec, s[2:3]
	v_add_u32_e32 v41, s72, v34
	v_lshlrev_b32_e32 v34, 2, v41
	v_cmp_gt_u32_e64 s[2:3], s33, v34
	v_lshlrev_b32_e32 v34, 4, v41
	buffer_store_dword v34, off, s[80:83], 0 offset:40 ; 4-byte Folded Spill
	v_mov_b32_e32 v34, 0
	v_mov_b32_e32 v35, 0
	;; [unrolled: 1-line block ×3, first 2 shown]
	s_and_saveexec_b64 s[8:9], s[2:3]
	s_cbranch_execz .LBB12_20
; %bb.19:
	v_lshlrev_b32_e32 v33, 4, v41
	global_load_dwordx4 v[33:36], v33, s[64:65]
.LBB12_20:
	s_or_b64 exec, exec, s[8:9]
	v_add_u32_e32 v42, s72, v41
	v_lshlrev_b32_e32 v41, 2, v42
	v_cmp_gt_u32_e64 s[68:69], s33, v41
	v_mov_b32_e32 v41, 0
	v_lshlrev_b32_e32 v43, 4, v42
	v_mov_b32_e32 v45, 0
	v_mov_b32_e32 v46, 0
	;; [unrolled: 1-line block ×4, first 2 shown]
	buffer_store_dword v43, off, s[80:83], 0 offset:52 ; 4-byte Folded Spill
	s_and_saveexec_b64 s[8:9], s[68:69]
	s_cbranch_execz .LBB12_22
; %bb.21:
	v_lshlrev_b32_e32 v43, 4, v42
	global_load_dwordx4 v[45:48], v43, s[64:65]
.LBB12_22:
	s_or_b64 exec, exec, s[8:9]
	v_add_u32_e32 v49, s72, v42
	v_lshlrev_b32_e32 v42, 2, v49
	v_cmp_gt_u32_e64 s[70:71], s33, v42
	v_lshlrev_b32_e32 v42, 4, v49
	buffer_store_dword v42, off, s[80:83], 0 offset:48 ; 4-byte Folded Spill
	v_mov_b32_e32 v42, 0
	v_mov_b32_e32 v43, 0
	;; [unrolled: 1-line block ×3, first 2 shown]
	s_and_saveexec_b64 s[8:9], s[70:71]
	s_cbranch_execz .LBB12_24
; %bb.23:
	v_lshlrev_b32_e32 v41, 4, v49
	global_load_dwordx4 v[41:44], v41, s[64:65]
.LBB12_24:
	s_or_b64 exec, exec, s[8:9]
	v_add_u32_e32 v54, s72, v49
	v_lshlrev_b32_e32 v49, 2, v54
	v_cmp_gt_u32_e64 s[8:9], s33, v49
	v_lshlrev_b32_e32 v49, 4, v54
	v_mov_b32_e32 v53, 0
	buffer_store_dword v49, off, s[80:83], 0 offset:56 ; 4-byte Folded Spill
	v_mov_b32_e32 v49, 0
	v_mov_b32_e32 v50, 0
	;; [unrolled: 1-line block ×4, first 2 shown]
	s_and_saveexec_b64 s[10:11], s[8:9]
	s_cbranch_execz .LBB12_26
; %bb.25:
	v_lshlrev_b32_e32 v49, 4, v54
	global_load_dwordx4 v[49:52], v49, s[64:65]
.LBB12_26:
	s_or_b64 exec, exec, s[10:11]
	v_add_u32_e32 v57, s72, v54
	v_lshlrev_b32_e32 v54, 2, v57
	v_cmp_gt_u32_e64 s[14:15], s33, v54
	v_mov_b32_e32 v54, 0
	v_mov_b32_e32 v55, 0
	;; [unrolled: 1-line block ×3, first 2 shown]
	s_and_saveexec_b64 s[12:13], s[14:15]
	s_cbranch_execz .LBB12_28
; %bb.27:
	v_mov_b32_e32 v58, 0
	v_lshlrev_b64 v[53:54], 4, v[57:58]
	v_mov_b32_e32 v55, s65
	v_add_co_u32_e64 v53, s[10:11], s64, v53
	v_addc_co_u32_e64 v54, s[10:11], v55, v54, s[10:11]
	global_load_dwordx4 v[53:56], v[53:54], off
.LBB12_28:
	s_or_b64 exec, exec, s[12:13]
	v_add_u32_e32 v65, s72, v57
	v_mov_b32_e32 v58, v57
	v_lshlrev_b32_e32 v57, 2, v65
	v_cmp_gt_u32_e64 s[10:11], s33, v57
	v_mov_b32_e32 v57, 0
	v_mov_b32_e32 v61, 0
	;; [unrolled: 1-line block ×5, first 2 shown]
	buffer_store_dword v58, off, s[80:83], 0 offset:32 ; 4-byte Folded Spill
	s_nop 0
	buffer_store_dword v59, off, s[80:83], 0 offset:36 ; 4-byte Folded Spill
	s_and_saveexec_b64 s[16:17], s[10:11]
	s_cbranch_execz .LBB12_30
; %bb.29:
	v_mov_b32_e32 v66, 0
	v_lshlrev_b64 v[58:59], 4, v[65:66]
	v_mov_b32_e32 v60, s65
	v_add_co_u32_e64 v58, s[12:13], s64, v58
	v_addc_co_u32_e64 v59, s[12:13], v60, v59, s[12:13]
	global_load_dwordx4 v[61:64], v[58:59], off
.LBB12_30:
	s_or_b64 exec, exec, s[16:17]
	v_mov_b32_e32 v58, v65
	buffer_store_dword v58, off, s[80:83], 0 offset:20 ; 4-byte Folded Spill
	s_nop 0
	buffer_store_dword v59, off, s[80:83], 0 offset:24 ; 4-byte Folded Spill
	v_add_u32_e32 v65, s72, v65
	v_lshlrev_b32_e32 v58, 2, v65
	v_cmp_gt_u32_e64 s[12:13], s33, v58
	v_mov_b32_e32 v58, 0
	v_mov_b32_e32 v59, 0
	v_mov_b32_e32 v60, 0
	s_and_saveexec_b64 s[20:21], s[12:13]
	s_cbranch_execz .LBB12_32
; %bb.31:
	v_mov_b32_e32 v66, 0
	v_lshlrev_b64 v[57:58], 4, v[65:66]
	v_mov_b32_e32 v59, s65
	v_add_co_u32_e64 v57, s[16:17], s64, v57
	v_addc_co_u32_e64 v58, s[16:17], v59, v58, s[16:17]
	global_load_dwordx4 v[57:60], v[57:58], off
.LBB12_32:
	s_or_b64 exec, exec, s[20:21]
	v_mov_b32_e32 v66, v65
	buffer_store_dword v66, off, s[80:83], 0 offset:12 ; 4-byte Folded Spill
	s_nop 0
	buffer_store_dword v67, off, s[80:83], 0 offset:16 ; 4-byte Folded Spill
	v_add_u32_e32 v66, s72, v65
	v_lshlrev_b32_e32 v65, 2, v66
	v_cmp_gt_u32_e64 s[16:17], s33, v65
	v_mov_b32_e32 v65, 0
	v_mov_b32_e32 v69, 0
	v_mov_b32_e32 v70, 0
	v_mov_b32_e32 v71, 0
	v_mov_b32_e32 v72, 0
	s_and_saveexec_b64 s[22:23], s[16:17]
	s_cbranch_execz .LBB12_34
; %bb.33:
	v_mov_b32_e32 v67, 0
	v_mov_b32_e32 v74, v67
	v_mov_b32_e32 v73, v66
	v_lshlrev_b64 v[66:67], 4, v[73:74]
	v_mov_b32_e32 v68, s65
	v_add_co_u32_e64 v66, s[20:21], s64, v66
	v_addc_co_u32_e64 v67, s[20:21], v68, v67, s[20:21]
	global_load_dwordx4 v[69:72], v[66:67], off
	v_mov_b32_e32 v66, v73
.LBB12_34:
	s_or_b64 exec, exec, s[22:23]
	v_mov_b32_e32 v67, v66
	v_add_u32_e32 v73, s72, v66
	buffer_store_dword v67, off, s[80:83], 0 offset:60 ; 4-byte Folded Spill
	s_nop 0
	buffer_store_dword v68, off, s[80:83], 0 offset:64 ; 4-byte Folded Spill
	v_lshlrev_b32_e32 v66, 2, v73
	v_cmp_gt_u32_e64 s[20:21], s33, v66
	v_mov_b32_e32 v66, 0
	v_mov_b32_e32 v67, 0
	v_mov_b32_e32 v68, 0
	s_and_saveexec_b64 s[26:27], s[20:21]
	s_cbranch_execz .LBB12_36
; %bb.35:
	v_mov_b32_e32 v74, 0
	v_lshlrev_b64 v[65:66], 4, v[73:74]
	v_mov_b32_e32 v67, s65
	v_add_co_u32_e64 v65, s[22:23], s64, v65
	v_addc_co_u32_e64 v66, s[22:23], v67, v66, s[22:23]
	global_load_dwordx4 v[65:68], v[65:66], off
.LBB12_36:
	s_or_b64 exec, exec, s[26:27]
	v_mov_b32_e32 v74, v73
	buffer_store_dword v74, off, s[80:83], 0 offset:68 ; 4-byte Folded Spill
	s_nop 0
	buffer_store_dword v75, off, s[80:83], 0 offset:72 ; 4-byte Folded Spill
	v_add_u32_e32 v74, s72, v73
	v_lshlrev_b32_e32 v73, 2, v74
	v_cmp_gt_u32_e64 s[22:23], s33, v73
	v_mov_b32_e32 v73, 0
	v_mov_b32_e32 v77, 0
	v_mov_b32_e32 v78, 0
	v_mov_b32_e32 v79, 0
	v_mov_b32_e32 v80, 0
	s_and_saveexec_b64 s[28:29], s[22:23]
	s_cbranch_execz .LBB12_38
; %bb.37:
	v_mov_b32_e32 v75, 0
	v_mov_b32_e32 v82, v75
	v_mov_b32_e32 v81, v74
	v_lshlrev_b64 v[74:75], 4, v[81:82]
	v_mov_b32_e32 v76, s65
	v_add_co_u32_e64 v74, s[26:27], s64, v74
	v_addc_co_u32_e64 v75, s[26:27], v76, v75, s[26:27]
	global_load_dwordx4 v[77:80], v[74:75], off
	v_mov_b32_e32 v74, v81
.LBB12_38:
	s_or_b64 exec, exec, s[28:29]
	v_mov_b32_e32 v75, v74
	v_add_u32_e32 v81, s72, v74
	buffer_store_dword v75, off, s[80:83], 0 offset:80 ; 4-byte Folded Spill
	s_nop 0
	buffer_store_dword v76, off, s[80:83], 0 offset:84 ; 4-byte Folded Spill
	;; [unrolled: 47-line block ×5, first 2 shown]
	v_lshlrev_b32_e32 v98, 2, v105
	v_cmp_gt_u32_e64 s[44:45], s33, v98
	v_mov_b32_e32 v98, 0
	v_mov_b32_e32 v99, 0
	;; [unrolled: 1-line block ×3, first 2 shown]
	s_and_saveexec_b64 s[48:49], s[44:45]
	s_cbranch_execz .LBB12_52
; %bb.51:
	v_mov_b32_e32 v106, 0
	v_lshlrev_b64 v[97:98], 4, v[105:106]
	v_mov_b32_e32 v99, s65
	v_add_co_u32_e64 v97, s[46:47], s64, v97
	v_addc_co_u32_e64 v98, s[46:47], v99, v98, s[46:47]
	global_load_dwordx4 v[97:100], v[97:98], off
.LBB12_52:
	s_or_b64 exec, exec, s[48:49]
	v_add_u32_e32 v113, s72, v105
	v_mov_b32_e32 v106, v105
	v_lshlrev_b32_e32 v105, 2, v113
	v_cmp_gt_u32_e64 s[46:47], s33, v105
	v_mov_b32_e32 v105, 0
	v_mov_b32_e32 v109, 0
	;; [unrolled: 1-line block ×5, first 2 shown]
	buffer_store_dword v106, off, s[80:83], 0 offset:148 ; 4-byte Folded Spill
	s_nop 0
	buffer_store_dword v107, off, s[80:83], 0 offset:152 ; 4-byte Folded Spill
	s_and_saveexec_b64 s[50:51], s[46:47]
	s_cbranch_execz .LBB12_54
; %bb.53:
	v_mov_b32_e32 v114, 0
	v_lshlrev_b64 v[106:107], 4, v[113:114]
	v_mov_b32_e32 v108, s65
	v_add_co_u32_e64 v106, s[48:49], s64, v106
	v_addc_co_u32_e64 v107, s[48:49], v108, v107, s[48:49]
	global_load_dwordx4 v[109:112], v[106:107], off
.LBB12_54:
	s_or_b64 exec, exec, s[50:51]
	v_mov_b32_e32 v106, v113
	buffer_store_dword v106, off, s[80:83], 0 offset:156 ; 4-byte Folded Spill
	s_nop 0
	buffer_store_dword v107, off, s[80:83], 0 offset:160 ; 4-byte Folded Spill
	v_add_u32_e32 v113, s72, v113
	v_lshlrev_b32_e32 v106, 2, v113
	v_cmp_gt_u32_e64 s[48:49], s33, v106
	v_mov_b32_e32 v106, 0
	v_mov_b32_e32 v107, 0
	;; [unrolled: 1-line block ×3, first 2 shown]
	s_and_saveexec_b64 s[52:53], s[48:49]
	s_cbranch_execz .LBB12_56
; %bb.55:
	v_mov_b32_e32 v114, 0
	v_lshlrev_b64 v[105:106], 4, v[113:114]
	v_mov_b32_e32 v107, s65
	v_add_co_u32_e64 v105, s[50:51], s64, v105
	v_addc_co_u32_e64 v106, s[50:51], v107, v106, s[50:51]
	global_load_dwordx4 v[105:108], v[105:106], off
.LBB12_56:
	s_or_b64 exec, exec, s[52:53]
	v_mov_b32_e32 v114, v113
	buffer_store_dword v114, off, s[80:83], 0 offset:164 ; 4-byte Folded Spill
	s_nop 0
	buffer_store_dword v115, off, s[80:83], 0 offset:168 ; 4-byte Folded Spill
	v_add_u32_e32 v114, s72, v113
	v_lshlrev_b32_e32 v113, 2, v114
	v_cmp_gt_u32_e64 s[50:51], s33, v113
	v_mov_b32_e32 v113, 0
	v_mov_b32_e32 v117, 0
	;; [unrolled: 1-line block ×5, first 2 shown]
	s_and_saveexec_b64 s[56:57], s[50:51]
	s_cbranch_execz .LBB12_58
; %bb.57:
	v_mov_b32_e32 v115, 0
	v_mov_b32_e32 v122, v115
	;; [unrolled: 1-line block ×3, first 2 shown]
	v_lshlrev_b64 v[114:115], 4, v[121:122]
	v_mov_b32_e32 v116, s65
	v_add_co_u32_e64 v114, s[52:53], s64, v114
	v_addc_co_u32_e64 v115, s[52:53], v116, v115, s[52:53]
	global_load_dwordx4 v[117:120], v[114:115], off
	v_mov_b32_e32 v114, v121
.LBB12_58:
	s_or_b64 exec, exec, s[56:57]
	v_mov_b32_e32 v115, v114
	v_add_u32_e32 v121, s72, v114
	buffer_store_dword v115, off, s[80:83], 0 offset:172 ; 4-byte Folded Spill
	s_nop 0
	buffer_store_dword v116, off, s[80:83], 0 offset:176 ; 4-byte Folded Spill
	v_lshlrev_b32_e32 v114, 2, v121
	v_cmp_gt_u32_e64 s[52:53], s33, v114
	v_mov_b32_e32 v114, 0
	v_mov_b32_e32 v115, 0
	;; [unrolled: 1-line block ×3, first 2 shown]
	s_and_saveexec_b64 s[58:59], s[52:53]
	s_cbranch_execz .LBB12_60
; %bb.59:
	v_mov_b32_e32 v122, 0
	v_lshlrev_b64 v[113:114], 4, v[121:122]
	v_mov_b32_e32 v115, s65
	v_add_co_u32_e64 v113, s[56:57], s64, v113
	v_addc_co_u32_e64 v114, s[56:57], v115, v114, s[56:57]
	global_load_dwordx4 v[113:116], v[113:114], off
.LBB12_60:
	s_or_b64 exec, exec, s[58:59]
	v_add_u32_e32 v129, s72, v121
	v_mov_b32_e32 v122, v121
	v_lshlrev_b32_e32 v121, 2, v129
	v_cmp_gt_u32_e64 s[56:57], s33, v121
	v_mov_b32_e32 v121, 0
	v_mov_b32_e32 v125, 0
	v_mov_b32_e32 v126, 0
	v_mov_b32_e32 v127, 0
	v_mov_b32_e32 v128, 0
	buffer_store_dword v122, off, s[80:83], 0 offset:180 ; 4-byte Folded Spill
	s_nop 0
	buffer_store_dword v123, off, s[80:83], 0 offset:184 ; 4-byte Folded Spill
	s_and_saveexec_b64 s[66:67], s[56:57]
	s_cbranch_execz .LBB12_62
; %bb.61:
	v_mov_b32_e32 v130, 0
	v_lshlrev_b64 v[122:123], 4, v[129:130]
	v_mov_b32_e32 v124, s65
	v_add_co_u32_e64 v122, s[58:59], s64, v122
	v_addc_co_u32_e64 v123, s[58:59], v124, v123, s[58:59]
	global_load_dwordx4 v[125:128], v[122:123], off
.LBB12_62:
	s_or_b64 exec, exec, s[66:67]
	v_mov_b32_e32 v122, v129
	buffer_store_dword v122, off, s[80:83], 0 offset:192 ; 4-byte Folded Spill
	s_nop 0
	buffer_store_dword v123, off, s[80:83], 0 offset:196 ; 4-byte Folded Spill
	v_add_u32_e32 v123, s72, v129
	v_mov_b32_e32 v122, v123
	buffer_store_dword v122, off, s[80:83], 0 ; 4-byte Folded Spill
	s_nop 0
	buffer_store_dword v123, off, s[80:83], 0 offset:4 ; 4-byte Folded Spill
	v_mov_b32_e32 v124, 0
	v_lshlrev_b32_e32 v122, 2, v123
	v_cmp_gt_u32_e64 s[58:59], s33, v122
	v_mov_b32_e32 v122, 0
	v_mov_b32_e32 v123, 0
	s_and_saveexec_b64 s[66:67], s[58:59]
	s_cbranch_execz .LBB12_64
; %bb.63:
	buffer_load_dword v121, off, s[80:83], 0 ; 4-byte Folded Reload
	buffer_load_dword v122, off, s[80:83], 0 offset:4 ; 4-byte Folded Reload
	v_mov_b32_e32 v123, 0
	s_waitcnt vmcnt(0)
	v_mov_b32_e32 v122, v121
	buffer_store_dword v121, off, s[80:83], 0 ; 4-byte Folded Spill
	s_nop 0
	buffer_store_dword v122, off, s[80:83], 0 offset:4 ; 4-byte Folded Spill
	v_lshlrev_b64 v[121:122], 4, v[122:123]
	v_mov_b32_e32 v123, s65
	v_add_co_u32_e64 v121, s[64:65], s64, v121
	v_addc_co_u32_e64 v122, s[64:65], v123, v122, s[64:65]
	global_load_dwordx4 v[121:124], v[121:122], off
.LBB12_64:
	s_or_b64 exec, exec, s[66:67]
	s_waitcnt vmcnt(50)
	v_add_f32_e32 v129, v5, v6
	v_sub_f32_e32 v130, v5, v6
	s_waitcnt vmcnt(49)
	v_add_f32_e32 v5, v1, v2
	v_sub_f32_e32 v1, v1, v2
	;; [unrolled: 3-line block ×13, first 2 shown]
	v_add_f32_e32 v49, v53, v54
	v_sub_f32_e32 v50, v53, v54
	s_waitcnt vmcnt(36)
	v_add_f32_e32 v53, v61, v62
	v_sub_f32_e32 v54, v61, v62
	s_waitcnt vmcnt(34)
	;; [unrolled: 3-line block ×16, first 2 shown]
	v_add_f32_e32 v125, v121, v122
	v_sub_f32_e32 v137, v121, v122
	v_add_f32_e32 v98, v7, v8
	v_sub_f32_e32 v121, v7, v8
	v_add_f32_e32 v7, v3, v4
	v_sub_f32_e32 v126, v3, v4
	v_add_f32_e32 v3, v15, v16
	v_sub_f32_e32 v15, v15, v16
	v_add_f32_e32 v4, v11, v12
	v_sub_f32_e32 v11, v11, v12
	v_add_f32_e32 v8, v23, v24
	v_sub_f32_e32 v12, v23, v24
	v_add_f32_e32 v16, v19, v20
	v_sub_f32_e32 v19, v19, v20
	v_add_f32_e32 v20, v31, v32
	v_add_f32_e32 v24, v27, v28
	;; [unrolled: 1-line block ×3, first 2 shown]
	v_sub_f32_e32 v156, v18, v20
	v_add_f32_e32 v157, v24, v29
	v_sub_f32_e32 v158, v29, v24
	v_add_f32_e32 v20, v1, v126
	v_sub_f32_e32 v24, v1, v126
	v_mbcnt_lo_u32_b32 v1, -1, 0
	v_mbcnt_hi_u32_b32 v1, -1, v1
	v_sub_f32_e32 v23, v31, v32
	v_add_f32_e32 v32, v35, v36
	v_sub_f32_e32 v35, v35, v36
	v_add_f32_e32 v36, v47, v48
	v_add_f32_e32 v147, v3, v2
	v_sub_f32_e32 v148, v2, v3
	v_and_b32_e32 v2, 64, v1
	v_add_f32_e32 v163, v36, v34
	v_sub_f32_e32 v164, v34, v36
	v_add_f32_e32 v34, v21, v12
	v_sub_f32_e32 v36, v21, v12
	v_add_u32_e32 v2, 64, v2
	v_xor_b32_e32 v12, 1, v1
	s_load_dword s33, s[4:5], 0x20
	v_cmp_lt_i32_e64 s[4:5], v12, v2
	v_sub_f32_e32 v27, v27, v28
	v_add_f32_e32 v28, v39, v40
	v_sub_f32_e32 v31, v39, v40
	v_add_f32_e32 v40, v43, v44
	v_cndmask_b32_e64 v12, v1, v12, s[4:5]
	v_add_f32_e32 v144, v98, v129
	v_add_f32_e32 v165, v40, v45
	v_sub_f32_e32 v166, v45, v40
	v_lshlrev_b32_e32 v45, 2, v12
	ds_bpermute_b32 v12, v45, v144
	v_add_f32_e32 v153, v16, v10
	v_sub_f32_e32 v154, v10, v16
	v_add_f32_e32 v159, v28, v26
	v_sub_f32_e32 v160, v26, v28
	v_add_f32_e32 v16, v130, v121
	v_add_f32_e32 v26, v13, v15
	v_sub_f32_e32 v28, v13, v15
	v_and_b32_e32 v13, 1, v0
	v_sub_f32_e32 v129, v129, v98
	v_add_f32_e32 v161, v32, v37
	v_sub_f32_e32 v162, v37, v32
	v_add_f32_e32 v29, v14, v11
	v_sub_f32_e32 v32, v14, v11
	ds_bpermute_b32 v14, v45, v16
	v_cmp_eq_u32_e64 s[64:65], 0, v13
	v_sub_f32_e32 v18, v130, v121
	v_cndmask_b32_e64 v13, -v144, v144, s[64:65]
	ds_bpermute_b32 v15, v45, v129
	v_add_f32_e32 v145, v7, v5
	s_waitcnt lgkmcnt(0)
	v_add_f32_e32 v12, v13, v12
	v_cndmask_b32_e64 v13, -v16, v16, s[64:65]
	ds_bpermute_b32 v16, v45, v18
	v_add_f32_e32 v37, v17, v19
	v_sub_f32_e32 v40, v17, v19
	ds_bpermute_b32 v17, v45, v145
	v_add_f32_e32 v13, v13, v14
	v_cndmask_b32_e64 v14, -v129, v129, s[64:65]
	v_sub_f32_e32 v146, v5, v7
	v_add_f32_e32 v14, v14, v15
	v_cndmask_b32_e64 v15, -v18, v18, s[64:65]
	ds_bpermute_b32 v18, v45, v20
	s_waitcnt lgkmcnt(2)
	v_add_f32_e32 v15, v15, v16
	v_cndmask_b32_e64 v16, -v145, v145, s[64:65]
	ds_bpermute_b32 v19, v45, v146
	s_waitcnt lgkmcnt(2)
	v_add_f32_e32 v16, v16, v17
	v_cndmask_b32_e64 v17, -v20, v20, s[64:65]
	ds_bpermute_b32 v20, v45, v24
	v_sub_f32_e32 v43, v43, v44
	v_add_f32_e32 v44, v51, v52
	ds_bpermute_b32 v21, v45, v147
	v_add_f32_e32 v167, v44, v42
	v_sub_f32_e32 v168, v42, v44
	v_add_f32_e32 v42, v22, v23
	v_sub_f32_e32 v44, v22, v23
	ds_bpermute_b32 v22, v45, v26
	s_waitcnt lgkmcnt(4)
	v_add_f32_e32 v17, v17, v18
	v_cndmask_b32_e64 v18, -v146, v146, s[64:65]
	ds_bpermute_b32 v23, v45, v148
	v_sub_f32_e32 v39, v47, v48
	v_add_f32_e32 v48, v55, v56
	v_add_f32_e32 v149, v4, v6
	s_waitcnt lgkmcnt(4)
	v_add_f32_e32 v18, v18, v19
	v_cndmask_b32_e64 v19, -v24, v24, s[64:65]
	ds_bpermute_b32 v24, v45, v28
	v_add_f32_e32 v169, v48, v49
	v_sub_f32_e32 v170, v49, v48
	v_add_f32_e32 v48, v25, v27
	v_sub_f32_e32 v49, v25, v27
	s_waitcnt lgkmcnt(4)
	v_add_f32_e32 v19, v19, v20
	v_cndmask_b32_e64 v20, -v147, v147, s[64:65]
	ds_bpermute_b32 v25, v45, v149
	s_waitcnt lgkmcnt(4)
	v_add_f32_e32 v20, v20, v21
	v_cndmask_b32_e64 v21, -v26, v26, s[64:65]
	v_sub_f32_e32 v150, v6, v4
	s_waitcnt lgkmcnt(3)
	v_add_f32_e32 v21, v21, v22
	v_cndmask_b32_e64 v22, -v148, v148, s[64:65]
	ds_bpermute_b32 v26, v45, v29
	s_waitcnt lgkmcnt(3)
	v_add_f32_e32 v22, v22, v23
	v_cndmask_b32_e64 v23, -v28, v28, s[64:65]
	ds_bpermute_b32 v27, v45, v150
	v_add_f32_e32 v151, v8, v9
	s_waitcnt lgkmcnt(3)
	v_add_f32_e32 v23, v23, v24
	v_cndmask_b32_e64 v24, -v149, v149, s[64:65]
	ds_bpermute_b32 v28, v45, v32
	v_sub_f32_e32 v47, v51, v52
	v_add_f32_e32 v52, v63, v64
	s_waitcnt lgkmcnt(3)
	v_add_f32_e32 v24, v24, v25
	v_cndmask_b32_e64 v25, -v29, v29, s[64:65]
	ds_bpermute_b32 v29, v45, v151
	v_sub_f32_e32 v152, v9, v8
	v_add_f32_e32 v171, v52, v53
	v_sub_f32_e32 v172, v53, v52
	v_add_f32_e32 v52, v30, v31
	v_sub_f32_e32 v53, v30, v31
	ds_bpermute_b32 v30, v45, v34
	s_waitcnt lgkmcnt(4)
	v_add_f32_e32 v25, v25, v26
	v_cndmask_b32_e64 v26, -v150, v150, s[64:65]
	ds_bpermute_b32 v31, v45, v152
	v_sub_f32_e32 v51, v55, v56
	v_add_f32_e32 v56, v59, v60
	v_sub_f32_e32 v59, v59, v60
	v_add_f32_e32 v60, v71, v72
	s_waitcnt lgkmcnt(4)
	v_add_f32_e32 v26, v26, v27
	v_cndmask_b32_e64 v27, -v32, v32, s[64:65]
	ds_bpermute_b32 v32, v45, v36
	v_add_f32_e32 v173, v56, v61
	v_sub_f32_e32 v174, v61, v56
	v_add_f32_e32 v175, v60, v58
	v_sub_f32_e32 v176, v58, v60
	;; [unrolled: 2-line block ×3, first 2 shown]
	s_waitcnt lgkmcnt(4)
	v_add_f32_e32 v27, v27, v28
	v_cndmask_b32_e64 v28, -v151, v151, s[64:65]
	ds_bpermute_b32 v33, v45, v153
	s_waitcnt lgkmcnt(4)
	v_add_f32_e32 v28, v28, v29
	v_cndmask_b32_e64 v29, -v34, v34, s[64:65]
	s_waitcnt lgkmcnt(3)
	v_add_f32_e32 v29, v29, v30
	v_cndmask_b32_e64 v30, -v152, v152, s[64:65]
	ds_bpermute_b32 v34, v45, v37
	s_waitcnt lgkmcnt(3)
	v_add_f32_e32 v30, v30, v31
	v_cndmask_b32_e64 v31, -v36, v36, s[64:65]
	ds_bpermute_b32 v35, v45, v154
	;; [unrolled: 4-line block ×4, first 2 shown]
	v_add_f32_e32 v60, v38, v39
	v_sub_f32_e32 v61, v38, v39
	ds_bpermute_b32 v38, v45, v42
	s_waitcnt lgkmcnt(4)
	v_add_f32_e32 v33, v33, v34
	v_cndmask_b32_e64 v34, -v154, v154, s[64:65]
	ds_bpermute_b32 v39, v45, v156
	v_sub_f32_e32 v55, v63, v64
	v_add_f32_e32 v64, v67, v68
	v_sub_f32_e32 v67, v67, v68
	v_add_f32_e32 v68, v79, v80
	s_waitcnt lgkmcnt(4)
	v_add_f32_e32 v34, v34, v35
	v_cndmask_b32_e64 v35, -v40, v40, s[64:65]
	ds_bpermute_b32 v40, v45, v44
	v_add_f32_e32 v177, v64, v69
	v_sub_f32_e32 v178, v69, v64
	v_add_f32_e32 v179, v68, v66
	v_sub_f32_e32 v180, v66, v68
	;; [unrolled: 2-line block ×3, first 2 shown]
	s_waitcnt lgkmcnt(4)
	v_add_f32_e32 v35, v35, v36
	v_cndmask_b32_e64 v36, -v155, v155, s[64:65]
	ds_bpermute_b32 v41, v45, v157
	s_waitcnt lgkmcnt(4)
	v_add_f32_e32 v36, v36, v37
	v_cndmask_b32_e64 v37, -v42, v42, s[64:65]
	ds_bpermute_b32 v42, v45, v48
	;; [unrolled: 4-line block ×3, first 2 shown]
	s_waitcnt lgkmcnt(4)
	v_add_f32_e32 v38, v38, v39
	v_cndmask_b32_e64 v39, -v44, v44, s[64:65]
	s_waitcnt lgkmcnt(3)
	v_add_f32_e32 v39, v39, v40
	v_cndmask_b32_e64 v40, -v157, v157, s[64:65]
	ds_bpermute_b32 v44, v45, v49
	v_add_f32_e32 v68, v46, v47
	v_sub_f32_e32 v69, v46, v47
	s_waitcnt lgkmcnt(3)
	v_add_f32_e32 v40, v40, v41
	v_cndmask_b32_e64 v41, -v48, v48, s[64:65]
	ds_bpermute_b32 v47, v45, v159
	s_waitcnt lgkmcnt(3)
	v_add_f32_e32 v41, v41, v42
	v_cndmask_b32_e64 v42, -v158, v158, s[64:65]
	ds_bpermute_b32 v48, v45, v52
	s_waitcnt lgkmcnt(3)
	v_add_f32_e32 v42, v42, v43
	v_cndmask_b32_e64 v43, -v49, v49, s[64:65]
	ds_bpermute_b32 v49, v45, v160
	v_sub_f32_e32 v63, v71, v72
	v_add_f32_e32 v72, v75, v76
	v_sub_f32_e32 v75, v75, v76
	v_add_f32_e32 v76, v87, v88
	v_sub_f32_e32 v71, v79, v80
	v_sub_f32_e32 v79, v87, v88
	v_add_f32_e32 v80, v83, v84
	v_sub_f32_e32 v83, v83, v84
	v_add_f32_e32 v84, v95, v96
	v_sub_f32_e32 v87, v95, v96
	v_add_f32_e32 v181, v72, v77
	v_sub_f32_e32 v182, v77, v72
	v_add_f32_e32 v183, v76, v74
	v_sub_f32_e32 v96, v74, v76
	v_add_f32_e32 v72, v50, v51
	v_sub_f32_e32 v74, v50, v51
	s_waitcnt lgkmcnt(3)
	v_add_f32_e32 v43, v43, v44
	v_cndmask_b32_e64 v44, -v159, v159, s[64:65]
	ds_bpermute_b32 v50, v45, v53
	s_waitcnt lgkmcnt(3)
	v_add_f32_e32 v44, v44, v47
	v_cndmask_b32_e64 v47, -v52, v52, s[64:65]
	ds_bpermute_b32 v51, v45, v161
	;; [unrolled: 4-line block ×4, first 2 shown]
	v_add_f32_e32 v76, v54, v55
	v_sub_f32_e32 v77, v54, v55
	ds_bpermute_b32 v54, v45, v58
	s_waitcnt lgkmcnt(4)
	v_add_f32_e32 v49, v49, v50
	v_cndmask_b32_e64 v50, -v161, v161, s[64:65]
	ds_bpermute_b32 v55, v45, v163
	s_waitcnt lgkmcnt(4)
	v_add_f32_e32 v50, v50, v51
	v_cndmask_b32_e64 v51, -v56, v56, s[64:65]
	ds_bpermute_b32 v56, v45, v60
	v_add_f32_e32 v88, v91, v92
	v_sub_f32_e32 v91, v91, v92
	v_add_f32_e32 v92, v103, v104
	v_sub_f32_e32 v95, v103, v104
	;; [unrolled: 2-line block ×6, first 2 shown]
	s_waitcnt lgkmcnt(4)
	v_add_f32_e32 v51, v51, v52
	v_cndmask_b32_e64 v52, -v162, v162, s[64:65]
	ds_bpermute_b32 v57, v45, v164
	s_waitcnt lgkmcnt(4)
	v_add_f32_e32 v52, v52, v53
	v_cndmask_b32_e64 v53, -v58, v58, s[64:65]
	s_waitcnt lgkmcnt(3)
	v_add_f32_e32 v53, v53, v54
	v_cndmask_b32_e64 v54, -v163, v163, s[64:65]
	ds_bpermute_b32 v58, v45, v61
	s_waitcnt lgkmcnt(3)
	v_add_f32_e32 v54, v54, v55
	v_cndmask_b32_e64 v55, -v60, v60, s[64:65]
	ds_bpermute_b32 v59, v45, v165
	;; [unrolled: 4-line block ×4, first 2 shown]
	v_add_f32_e32 v84, v62, v63
	v_sub_f32_e32 v85, v62, v63
	ds_bpermute_b32 v62, v45, v66
	s_waitcnt lgkmcnt(4)
	v_add_f32_e32 v57, v57, v58
	v_cndmask_b32_e64 v58, -v165, v165, s[64:65]
	ds_bpermute_b32 v63, v45, v167
	s_waitcnt lgkmcnt(4)
	v_add_f32_e32 v58, v58, v59
	v_cndmask_b32_e64 v59, -v64, v64, s[64:65]
	ds_bpermute_b32 v64, v45, v68
	v_add_f32_e32 v131, v109, v110
	v_sub_f32_e32 v109, v109, v110
	v_add_f32_e32 v132, v105, v106
	v_sub_f32_e32 v105, v105, v106
	v_add_f32_e32 v122, v111, v112
	v_sub_f32_e32 v138, v111, v112
	v_add_f32_e32 v111, v107, v108
	v_sub_f32_e32 v107, v107, v108
	v_add_f32_e32 v106, v88, v93
	v_sub_f32_e32 v108, v93, v88
	v_add_f32_e32 v110, v92, v90
	v_sub_f32_e32 v112, v90, v92
	v_add_f32_e32 v88, v65, v67
	v_sub_f32_e32 v90, v65, v67
	s_waitcnt lgkmcnt(4)
	v_add_f32_e32 v59, v59, v60
	v_cndmask_b32_e64 v60, -v166, v166, s[64:65]
	ds_bpermute_b32 v65, v45, v168
	s_waitcnt lgkmcnt(4)
	v_add_f32_e32 v60, v60, v61
	v_cndmask_b32_e64 v61, -v66, v66, s[64:65]
	s_waitcnt lgkmcnt(3)
	v_add_f32_e32 v61, v61, v62
	v_cndmask_b32_e64 v62, -v167, v167, s[64:65]
	ds_bpermute_b32 v66, v45, v69
	s_waitcnt lgkmcnt(3)
	v_add_f32_e32 v62, v62, v63
	v_cndmask_b32_e64 v63, -v68, v68, s[64:65]
	ds_bpermute_b32 v67, v45, v169
	;; [unrolled: 4-line block ×4, first 2 shown]
	v_add_f32_e32 v92, v70, v71
	v_sub_f32_e32 v93, v70, v71
	ds_bpermute_b32 v70, v45, v74
	s_waitcnt lgkmcnt(4)
	v_add_f32_e32 v65, v65, v66
	v_cndmask_b32_e64 v66, -v169, v169, s[64:65]
	ds_bpermute_b32 v71, v45, v171
	s_waitcnt lgkmcnt(4)
	v_add_f32_e32 v66, v66, v67
	v_cndmask_b32_e64 v67, -v72, v72, s[64:65]
	ds_bpermute_b32 v72, v45, v76
	v_add_f32_e32 v139, v119, v120
	v_sub_f32_e32 v140, v119, v120
	v_add_f32_e32 v119, v115, v116
	v_sub_f32_e32 v141, v115, v116
	;; [unrolled: 2-line block ×4, first 2 shown]
	s_waitcnt lgkmcnt(4)
	v_add_f32_e32 v67, v67, v68
	v_cndmask_b32_e64 v68, -v170, v170, s[64:65]
	ds_bpermute_b32 v73, v45, v172
	s_waitcnt lgkmcnt(4)
	v_add_f32_e32 v68, v68, v69
	v_cndmask_b32_e64 v69, -v74, v74, s[64:65]
	s_waitcnt lgkmcnt(3)
	v_add_f32_e32 v69, v69, v70
	v_cndmask_b32_e64 v70, -v171, v171, s[64:65]
	ds_bpermute_b32 v74, v45, v77
	s_waitcnt lgkmcnt(3)
	v_add_f32_e32 v70, v70, v71
	v_cndmask_b32_e64 v71, -v76, v76, s[64:65]
	ds_bpermute_b32 v75, v45, v173
	;; [unrolled: 4-line block ×4, first 2 shown]
	v_add_f32_e32 v118, v122, v131
	v_sub_f32_e32 v120, v131, v122
	v_add_f32_e32 v10, v139, v133
	v_sub_f32_e32 v9, v133, v139
	;; [unrolled: 2-line block ×3, first 2 shown]
	ds_bpermute_b32 v78, v45, v82
	s_waitcnt lgkmcnt(4)
	v_add_f32_e32 v73, v73, v74
	v_cndmask_b32_e64 v74, -v173, v173, s[64:65]
	ds_bpermute_b32 v79, v45, v175
	s_waitcnt lgkmcnt(4)
	v_add_f32_e32 v74, v74, v75
	v_cndmask_b32_e64 v75, -v80, v80, s[64:65]
	ds_bpermute_b32 v80, v45, v84
	v_add_f32_e32 v139, v81, v83
	v_sub_f32_e32 v184, v81, v83
	s_waitcnt lgkmcnt(4)
	v_add_f32_e32 v75, v75, v76
	v_cndmask_b32_e64 v76, -v174, v174, s[64:65]
	ds_bpermute_b32 v81, v45, v176
	s_waitcnt lgkmcnt(4)
	v_add_f32_e32 v76, v76, v77
	v_cndmask_b32_e64 v77, -v82, v82, s[64:65]
	s_waitcnt lgkmcnt(3)
	v_add_f32_e32 v77, v77, v78
	v_cndmask_b32_e64 v78, -v175, v175, s[64:65]
	ds_bpermute_b32 v82, v45, v85
	s_waitcnt lgkmcnt(3)
	v_add_f32_e32 v78, v78, v79
	v_cndmask_b32_e64 v79, -v84, v84, s[64:65]
	ds_bpermute_b32 v83, v45, v177
	;; [unrolled: 4-line block ×4, first 2 shown]
	v_add_f32_e32 v185, v86, v87
	v_sub_f32_e32 v186, v86, v87
	ds_bpermute_b32 v86, v45, v90
	s_waitcnt lgkmcnt(4)
	v_add_f32_e32 v81, v81, v82
	v_cndmask_b32_e64 v82, -v177, v177, s[64:65]
	ds_bpermute_b32 v87, v45, v179
	s_waitcnt lgkmcnt(4)
	v_add_f32_e32 v82, v82, v83
	v_cndmask_b32_e64 v83, -v88, v88, s[64:65]
	ds_bpermute_b32 v88, v45, v92
	v_add_f32_e32 v187, v89, v91
	v_sub_f32_e32 v188, v89, v91
	s_waitcnt lgkmcnt(4)
	v_add_f32_e32 v83, v83, v84
	v_cndmask_b32_e64 v84, -v178, v178, s[64:65]
	ds_bpermute_b32 v89, v45, v180
	s_waitcnt lgkmcnt(4)
	v_add_f32_e32 v84, v84, v85
	v_cndmask_b32_e64 v85, -v90, v90, s[64:65]
	s_waitcnt lgkmcnt(3)
	v_add_f32_e32 v85, v85, v86
	v_cndmask_b32_e64 v86, -v179, v179, s[64:65]
	ds_bpermute_b32 v90, v45, v93
	s_waitcnt lgkmcnt(3)
	v_add_f32_e32 v86, v86, v87
	v_cndmask_b32_e64 v87, -v92, v92, s[64:65]
	ds_bpermute_b32 v91, v45, v181
	;; [unrolled: 4-line block ×3, first 2 shown]
	v_add_f32_e32 v115, v127, v128
	s_waitcnt lgkmcnt(3)
	v_add_f32_e32 v88, v88, v89
	v_cndmask_b32_e64 v89, -v93, v93, s[64:65]
	ds_bpermute_b32 v93, v45, v182
	v_sub_f32_e32 v142, v127, v128
	v_add_f32_e32 v127, v123, v124
	v_sub_f32_e32 v143, v123, v124
	v_add_f32_e32 v122, v111, v132
	;; [unrolled: 2-line block ×4, first 2 shown]
	v_sub_f32_e32 v113, v94, v95
	ds_bpermute_b32 v94, v45, v103
	s_waitcnt lgkmcnt(4)
	v_add_f32_e32 v89, v89, v90
	v_cndmask_b32_e64 v90, -v181, v181, s[64:65]
	ds_bpermute_b32 v95, v45, v183
	v_add_f32_e32 v8, v119, v117
	v_sub_f32_e32 v7, v117, v119
	v_add_f32_e32 v115, v97, v99
	v_sub_f32_e32 v117, v97, v99
	s_waitcnt lgkmcnt(4)
	v_add_f32_e32 v90, v90, v91
	v_cndmask_b32_e64 v91, -v101, v101, s[64:65]
	ds_bpermute_b32 v97, v45, v131
	s_waitcnt lgkmcnt(4)
	v_add_f32_e32 v91, v91, v92
	v_cndmask_b32_e64 v92, -v182, v182, s[64:65]
	s_waitcnt lgkmcnt(3)
	v_add_f32_e32 v92, v92, v93
	v_cndmask_b32_e64 v93, -v103, v103, s[64:65]
	;; [unrolled: 3-line block ×3, first 2 shown]
	s_waitcnt lgkmcnt(1)
	v_add_f32_e32 v94, v94, v95
	ds_bpermute_b32 v99, v45, v96
	v_cndmask_b32_e64 v95, -v131, v131, s[64:65]
	s_waitcnt lgkmcnt(1)
	v_add_f32_e32 v95, v95, v97
	ds_bpermute_b32 v97, v45, v133
	v_cndmask_b32_e64 v96, -v96, v96, s[64:65]
	;; [unrolled: 4-line block ×6, first 2 shown]
	v_add_f32_e32 v4, v127, v125
	v_sub_f32_e32 v3, v125, v127
	v_add_f32_e32 v123, v105, v107
	v_sub_f32_e32 v125, v105, v107
	s_waitcnt lgkmcnt(1)
	v_add_f32_e32 v100, v100, v103
	ds_bpermute_b32 v103, v45, v102
	v_cndmask_b32_e64 v105, -v184, v184, s[64:65]
	s_waitcnt lgkmcnt(1)
	v_add_f32_e32 v101, v105, v101
	ds_bpermute_b32 v105, v45, v185
	v_cndmask_b32_e64 v102, -v102, v102, s[64:65]
	;; [unrolled: 4-line block ×3, first 2 shown]
	s_waitcnt lgkmcnt(1)
	v_add_f32_e32 v103, v103, v105
	ds_bpermute_b32 v105, v45, v186
	ds_bpermute_b32 v129, v45, v108
	v_cndmask_b32_e64 v104, -v104, v104, s[64:65]
	v_add_f32_e32 v119, v109, v138
	v_sub_f32_e32 v121, v109, v138
	s_waitcnt lgkmcnt(2)
	v_add_f32_e32 v104, v104, v107
	ds_bpermute_b32 v107, v45, v106
	v_cndmask_b32_e64 v109, -v186, v186, s[64:65]
	s_waitcnt lgkmcnt(2)
	v_add_f32_e32 v105, v109, v105
	ds_bpermute_b32 v109, v45, v187
	v_cndmask_b32_e64 v108, -v108, v108, s[64:65]
	;; [unrolled: 4-line block ×3, first 2 shown]
	s_waitcnt lgkmcnt(2)
	v_add_f32_e32 v106, v106, v107
	v_cndmask_b32_e64 v107, -v187, v187, s[64:65]
	s_waitcnt lgkmcnt(1)
	v_add_f32_e32 v107, v107, v109
	ds_bpermute_b32 v109, v45, v188
	v_cndmask_b32_e64 v110, -v110, v110, s[64:65]
	s_waitcnt lgkmcnt(1)
	v_add_f32_e32 v110, v110, v129
	ds_bpermute_b32 v129, v45, v112
	;; [unrolled: 4-line block ×18, first 2 shown]
	v_add_f32_e32 v126, v134, v140
	v_cndmask_b32_e64 v125, -v125, v125, s[64:65]
	s_waitcnt lgkmcnt(1)
	v_add_f32_e32 v125, v125, v131
	ds_bpermute_b32 v131, v45, v126
	v_cndmask_b32_e64 v9, -v9, v9, s[64:65]
	s_waitcnt lgkmcnt(1)
	v_add_f32_e32 v9, v9, v129
	ds_bpermute_b32 v129, v45, v8
	v_sub_f32_e32 v127, v134, v140
	v_cndmask_b32_e64 v126, -v126, v126, s[64:65]
	s_waitcnt lgkmcnt(1)
	v_add_f32_e32 v126, v126, v131
	ds_bpermute_b32 v131, v45, v127
	v_cndmask_b32_e64 v8, -v8, v8, s[64:65]
	s_waitcnt lgkmcnt(1)
	v_add_f32_e32 v8, v8, v129
	ds_bpermute_b32 v129, v45, v7
	v_add_f32_e32 v128, v135, v141
	v_cndmask_b32_e64 v127, -v127, v127, s[64:65]
	s_waitcnt lgkmcnt(1)
	v_add_f32_e32 v127, v127, v131
	ds_bpermute_b32 v131, v45, v128
	v_cndmask_b32_e64 v7, -v7, v7, s[64:65]
	s_waitcnt lgkmcnt(1)
	v_add_f32_e32 v7, v7, v129
	ds_bpermute_b32 v129, v45, v6
	v_sub_f32_e32 v130, v135, v141
	v_cndmask_b32_e64 v128, -v128, v128, s[64:65]
	s_waitcnt lgkmcnt(1)
	v_add_f32_e32 v128, v128, v131
	ds_bpermute_b32 v131, v45, v130
	v_cndmask_b32_e64 v6, -v6, v6, s[64:65]
	s_waitcnt lgkmcnt(1)
	v_add_f32_e32 v6, v6, v129
	ds_bpermute_b32 v129, v45, v5
	;; [unrolled: 18-line block ×3, first 2 shown]
	v_add_f32_e32 v46, v137, v143
	v_cndmask_b32_e64 v133, -v134, v134, s[64:65]
	v_sub_f32_e32 v11, v137, v143
	s_waitcnt lgkmcnt(1)
	v_add_f32_e32 v134, v133, v131
	ds_bpermute_b32 v131, v45, v46
	ds_bpermute_b32 v129, v45, v11
	v_cndmask_b32_e64 v3, -v3, v3, s[64:65]
	s_waitcnt lgkmcnt(2)
	v_add_f32_e32 v3, v3, v4
	v_cndmask_b32_e64 v4, -v11, v11, s[64:65]
	v_xor_b32_e32 v11, 2, v1
	v_cmp_lt_i32_e64 s[4:5], v11, v2
	v_cndmask_b32_e64 v46, -v46, v46, s[64:65]
	v_cndmask_b32_e64 v11, v1, v11, s[4:5]
	s_waitcnt lgkmcnt(1)
	v_add_f32_e32 v138, v46, v131
	v_lshlrev_b32_e32 v46, 2, v11
	s_waitcnt lgkmcnt(0)
	v_add_f32_e32 v4, v4, v129
	ds_bpermute_b32 v11, v46, v12
	v_and_b32_e32 v129, 2, v0
	v_cmp_eq_u32_e64 s[66:67], 0, v129
	ds_bpermute_b32 v129, v46, v14
	v_cndmask_b32_e64 v12, -v12, v12, s[66:67]
	ds_bpermute_b32 v131, v46, v13
	s_waitcnt lgkmcnt(2)
	v_add_f32_e32 v11, v12, v11
	v_cndmask_b32_e64 v12, -v13, v13, s[66:67]
	v_cndmask_b32_e64 v13, -v14, v14, s[66:67]
	s_waitcnt lgkmcnt(1)
	v_add_f32_e32 v13, v13, v129
	ds_bpermute_b32 v129, v46, v16
	s_waitcnt lgkmcnt(1)
	v_add_f32_e32 v12, v12, v131
	ds_bpermute_b32 v131, v46, v15
	v_cndmask_b32_e64 v14, -v15, v15, s[66:67]
	v_cndmask_b32_e64 v15, -v16, v16, s[66:67]
	s_waitcnt lgkmcnt(1)
	v_add_f32_e32 v15, v15, v129
	ds_bpermute_b32 v129, v46, v18
	s_waitcnt lgkmcnt(1)
	v_add_f32_e32 v14, v14, v131
	ds_bpermute_b32 v131, v46, v17
	;; [unrolled: 8-line block ×55, first 2 shown]
	v_cndmask_b32_e64 v124, -v125, v125, s[66:67]
	ds_bpermute_b32 v125, v46, v126
	v_cndmask_b32_e64 v10, -v10, v10, s[66:67]
	s_waitcnt lgkmcnt(2)
	v_add_f32_e32 v10, v10, v129
	ds_bpermute_b32 v129, v46, v9
	v_cndmask_b32_e64 v126, -v126, v126, s[66:67]
	s_waitcnt lgkmcnt(1)
	v_add_f32_e32 v125, v126, v125
	;; [unrolled: 4-line block ×9, first 2 shown]
	ds_bpermute_b32 v129, v46, v5
	v_add_f32_e32 v124, v124, v131
	v_cndmask_b32_e64 v131, -v132, v132, s[66:67]
	s_waitcnt lgkmcnt(1)
	v_add_f32_e32 v130, v131, v130
	ds_bpermute_b32 v131, v46, v134
	v_cndmask_b32_e64 v5, -v5, v5, s[66:67]
	s_waitcnt lgkmcnt(1)
	v_add_f32_e32 v5, v5, v129
	ds_bpermute_b32 v129, v46, v136
	v_cndmask_b32_e64 v132, -v134, v134, s[66:67]
	s_waitcnt lgkmcnt(1)
	v_add_f32_e32 v132, v132, v131
	v_cndmask_b32_e64 v131, -v136, v136, s[66:67]
	ds_bpermute_b32 v133, v46, v138
	s_waitcnt lgkmcnt(1)
	v_add_f32_e32 v134, v131, v129
	ds_bpermute_b32 v129, v46, v3
	v_cndmask_b32_e64 v3, -v3, v3, s[66:67]
	v_cndmask_b32_e64 v131, -v138, v138, s[66:67]
	s_waitcnt lgkmcnt(1)
	v_add_f32_e32 v136, v131, v133
	v_and_b32_e32 v131, 4, v0
	s_waitcnt lgkmcnt(0)
	v_add_f32_e32 v3, v3, v129
	v_xor_b32_e32 v129, 4, v1
	v_cmp_lt_i32_e64 s[4:5], v129, v2
	v_cndmask_b32_e64 v129, v1, v129, s[4:5]
	v_lshlrev_b32_e32 v138, 2, v129
	ds_bpermute_b32 v129, v138, v11
	v_cmp_eq_u32_e64 s[4:5], 0, v131
	v_cndmask_b32_e64 v11, -v11, v11, s[4:5]
	ds_bpermute_b32 v131, v138, v14
	v_cndmask_b32_e64 v14, -v14, v14, s[4:5]
	s_waitcnt lgkmcnt(1)
	v_add_f32_e32 v11, v11, v129
	ds_bpermute_b32 v129, v138, v13
	v_cndmask_b32_e64 v13, -v13, v13, s[4:5]
	s_waitcnt lgkmcnt(1)
	v_add_f32_e32 v14, v14, v131
	;; [unrolled: 4-line block ×122, first 2 shown]
	v_cndmask_b32_e64 v131, -v134, v134, s[4:5]
	ds_bpermute_b32 v135, v46, v4
	s_waitcnt lgkmcnt(1)
	v_add_f32_e32 v5, v5, v129
	ds_bpermute_b32 v129, v138, v134
	ds_bpermute_b32 v133, v138, v12
	v_cndmask_b32_e64 v4, -v4, v4, s[66:67]
	s_waitcnt lgkmcnt(2)
	v_add_f32_e32 v4, v4, v135
	v_cndmask_b32_e64 v12, -v12, v12, s[4:5]
	s_waitcnt lgkmcnt(1)
	v_add_f32_e32 v134, v131, v129
	ds_bpermute_b32 v129, v138, v3
	v_cndmask_b32_e64 v3, -v3, v3, s[4:5]
	s_waitcnt lgkmcnt(1)
	v_add_f32_e32 v12, v12, v133
	ds_bpermute_b32 v133, v138, v136
	v_cndmask_b32_e64 v131, -v136, v136, s[4:5]
	s_waitcnt lgkmcnt(1)
	v_add_f32_e32 v3, v3, v129
	v_xor_b32_e32 v129, 8, v1
	ds_bpermute_b32 v135, v138, v4
	v_cndmask_b32_e64 v4, -v4, v4, s[4:5]
	v_cmp_lt_i32_e64 s[4:5], v129, v2
	v_cndmask_b32_e64 v129, v1, v129, s[4:5]
	v_lshlrev_b32_e32 v138, 2, v129
	ds_bpermute_b32 v129, v138, v11
	s_waitcnt lgkmcnt(2)
	v_add_f32_e32 v136, v131, v133
	v_and_b32_e32 v131, 8, v0
	v_cmp_eq_u32_e64 s[4:5], 0, v131
	v_cndmask_b32_e64 v11, -v11, v11, s[4:5]
	s_waitcnt lgkmcnt(0)
	v_add_f32_e32 v11, v11, v129
	ds_bpermute_b32 v129, v138, v13
	ds_bpermute_b32 v131, v138, v14
	v_cndmask_b32_e64 v13, -v13, v13, s[4:5]
	v_cndmask_b32_e64 v14, -v14, v14, s[4:5]
	ds_bpermute_b32 v133, v138, v12
	s_waitcnt lgkmcnt(2)
	v_add_f32_e32 v13, v13, v129
	ds_bpermute_b32 v129, v138, v15
	s_waitcnt lgkmcnt(2)
	v_add_f32_e32 v14, v14, v131
	ds_bpermute_b32 v131, v138, v16
	v_cndmask_b32_e64 v15, -v15, v15, s[4:5]
	v_cndmask_b32_e64 v16, -v16, v16, s[4:5]
	s_waitcnt lgkmcnt(1)
	v_add_f32_e32 v15, v15, v129
	ds_bpermute_b32 v129, v138, v17
	s_waitcnt lgkmcnt(1)
	v_add_f32_e32 v16, v16, v131
	ds_bpermute_b32 v131, v138, v18
	v_cndmask_b32_e64 v17, -v17, v17, s[4:5]
	v_cndmask_b32_e64 v18, -v18, v18, s[4:5]
	;; [unrolled: 8-line block ×60, first 2 shown]
	s_waitcnt lgkmcnt(1)
	v_add_f32_e32 v5, v5, v129
	ds_bpermute_b32 v129, v138, v134
	s_waitcnt lgkmcnt(1)
	v_add_f32_e32 v132, v132, v131
	v_cndmask_b32_e64 v131, -v134, v134, s[4:5]
	v_add_f32_e32 v4, v4, v135
	v_cndmask_b32_e64 v12, -v12, v12, s[4:5]
	s_waitcnt lgkmcnt(0)
	v_add_f32_e32 v146, v131, v129
	ds_bpermute_b32 v129, v138, v3
	v_cndmask_b32_e64 v3, -v3, v3, s[4:5]
	v_add_f32_e32 v12, v12, v133
	ds_bpermute_b32 v133, v138, v136
	v_cndmask_b32_e64 v131, -v136, v136, s[4:5]
	s_waitcnt lgkmcnt(1)
	v_add_f32_e32 v3, v3, v129
	v_xor_b32_e32 v129, 16, v1
	ds_bpermute_b32 v134, v138, v4
	v_cndmask_b32_e64 v4, -v4, v4, s[4:5]
	v_cmp_lt_i32_e64 s[4:5], v129, v2
	v_cndmask_b32_e64 v129, v1, v129, s[4:5]
	v_lshlrev_b32_e32 v152, 2, v129
	ds_bpermute_b32 v129, v152, v11
	s_waitcnt lgkmcnt(2)
	v_add_f32_e32 v148, v131, v133
	v_and_b32_e32 v131, 16, v0
	v_cmp_eq_u32_e64 s[4:5], 0, v131
	v_cndmask_b32_e64 v11, -v11, v11, s[4:5]
	s_waitcnt lgkmcnt(0)
	v_add_f32_e32 v11, v11, v129
	ds_bpermute_b32 v129, v152, v13
	v_cndmask_b32_e64 v13, -v13, v13, s[4:5]
	ds_bpermute_b32 v131, v152, v14
	v_cndmask_b32_e64 v14, -v14, v14, s[4:5]
	v_add_f32_e32 v4, v4, v134
	s_waitcnt lgkmcnt(1)
	v_add_f32_e32 v13, v13, v129
	ds_bpermute_b32 v129, v152, v15
	v_cndmask_b32_e64 v15, -v15, v15, s[4:5]
	s_waitcnt lgkmcnt(1)
	v_add_f32_e32 v14, v14, v131
	ds_bpermute_b32 v131, v152, v16
	v_cndmask_b32_e64 v16, -v16, v16, s[4:5]
	s_waitcnt lgkmcnt(1)
	v_add_f32_e32 v15, v15, v129
	ds_bpermute_b32 v129, v152, v17
	v_cndmask_b32_e64 v17, -v17, v17, s[4:5]
	s_waitcnt lgkmcnt(1)
	v_add_f32_e32 v16, v16, v131
	ds_bpermute_b32 v131, v152, v18
	v_cndmask_b32_e64 v18, -v18, v18, s[4:5]
	s_waitcnt lgkmcnt(1)
	v_add_f32_e32 v17, v17, v129
	ds_bpermute_b32 v129, v152, v19
	v_cndmask_b32_e64 v19, -v19, v19, s[4:5]
	s_waitcnt lgkmcnt(1)
	v_add_f32_e32 v18, v18, v131
	ds_bpermute_b32 v131, v152, v20
	v_cndmask_b32_e64 v20, -v20, v20, s[4:5]
	s_waitcnt lgkmcnt(1)
	v_add_f32_e32 v19, v19, v129
	ds_bpermute_b32 v129, v152, v21
	v_cndmask_b32_e64 v21, -v21, v21, s[4:5]
	s_waitcnt lgkmcnt(1)
	v_add_f32_e32 v20, v20, v131
	ds_bpermute_b32 v131, v152, v22
	v_cndmask_b32_e64 v22, -v22, v22, s[4:5]
	s_waitcnt lgkmcnt(1)
	v_add_f32_e32 v21, v21, v129
	ds_bpermute_b32 v129, v152, v23
	v_cndmask_b32_e64 v23, -v23, v23, s[4:5]
	s_waitcnt lgkmcnt(1)
	v_add_f32_e32 v22, v22, v131
	ds_bpermute_b32 v131, v152, v24
	v_cndmask_b32_e64 v24, -v24, v24, s[4:5]
	s_waitcnt lgkmcnt(1)
	v_add_f32_e32 v23, v23, v129
	ds_bpermute_b32 v129, v152, v25
	v_cndmask_b32_e64 v25, -v25, v25, s[4:5]
	s_waitcnt lgkmcnt(1)
	v_add_f32_e32 v24, v24, v131
	ds_bpermute_b32 v131, v152, v26
	v_cndmask_b32_e64 v26, -v26, v26, s[4:5]
	s_waitcnt lgkmcnt(1)
	v_add_f32_e32 v25, v25, v129
	ds_bpermute_b32 v129, v152, v27
	v_cndmask_b32_e64 v27, -v27, v27, s[4:5]
	s_waitcnt lgkmcnt(1)
	v_add_f32_e32 v26, v26, v131
	ds_bpermute_b32 v131, v152, v28
	v_cndmask_b32_e64 v28, -v28, v28, s[4:5]
	s_waitcnt lgkmcnt(1)
	v_add_f32_e32 v27, v27, v129
	ds_bpermute_b32 v129, v152, v29
	v_cndmask_b32_e64 v29, -v29, v29, s[4:5]
	s_waitcnt lgkmcnt(1)
	v_add_f32_e32 v28, v28, v131
	ds_bpermute_b32 v131, v152, v30
	v_cndmask_b32_e64 v30, -v30, v30, s[4:5]
	s_waitcnt lgkmcnt(1)
	v_add_f32_e32 v29, v29, v129
	ds_bpermute_b32 v129, v152, v31
	v_cndmask_b32_e64 v31, -v31, v31, s[4:5]
	s_waitcnt lgkmcnt(1)
	v_add_f32_e32 v30, v30, v131
	ds_bpermute_b32 v131, v152, v32
	v_cndmask_b32_e64 v32, -v32, v32, s[4:5]
	s_waitcnt lgkmcnt(1)
	v_add_f32_e32 v31, v31, v129
	ds_bpermute_b32 v129, v152, v33
	v_cndmask_b32_e64 v33, -v33, v33, s[4:5]
	s_waitcnt lgkmcnt(1)
	v_add_f32_e32 v32, v32, v131
	ds_bpermute_b32 v131, v152, v34
	v_cndmask_b32_e64 v34, -v34, v34, s[4:5]
	s_waitcnt lgkmcnt(1)
	v_add_f32_e32 v33, v33, v129
	ds_bpermute_b32 v129, v152, v35
	v_cndmask_b32_e64 v35, -v35, v35, s[4:5]
	s_waitcnt lgkmcnt(1)
	v_add_f32_e32 v34, v34, v131
	ds_bpermute_b32 v131, v152, v36
	v_cndmask_b32_e64 v36, -v36, v36, s[4:5]
	s_waitcnt lgkmcnt(1)
	v_add_f32_e32 v35, v35, v129
	ds_bpermute_b32 v129, v152, v37
	v_cndmask_b32_e64 v37, -v37, v37, s[4:5]
	s_waitcnt lgkmcnt(1)
	v_add_f32_e32 v36, v36, v131
	ds_bpermute_b32 v131, v152, v38
	v_cndmask_b32_e64 v38, -v38, v38, s[4:5]
	s_waitcnt lgkmcnt(1)
	v_add_f32_e32 v37, v37, v129
	ds_bpermute_b32 v129, v152, v39
	v_cndmask_b32_e64 v39, -v39, v39, s[4:5]
	s_waitcnt lgkmcnt(1)
	v_add_f32_e32 v38, v38, v131
	ds_bpermute_b32 v131, v152, v40
	v_cndmask_b32_e64 v40, -v40, v40, s[4:5]
	s_waitcnt lgkmcnt(1)
	v_add_f32_e32 v39, v39, v129
	ds_bpermute_b32 v129, v152, v41
	v_cndmask_b32_e64 v41, -v41, v41, s[4:5]
	s_waitcnt lgkmcnt(1)
	v_add_f32_e32 v40, v40, v131
	ds_bpermute_b32 v131, v152, v42
	v_cndmask_b32_e64 v42, -v42, v42, s[4:5]
	s_waitcnt lgkmcnt(1)
	v_add_f32_e32 v41, v41, v129
	ds_bpermute_b32 v129, v152, v43
	v_cndmask_b32_e64 v43, -v43, v43, s[4:5]
	s_waitcnt lgkmcnt(1)
	v_add_f32_e32 v42, v42, v131
	ds_bpermute_b32 v131, v152, v44
	v_cndmask_b32_e64 v44, -v44, v44, s[4:5]
	s_waitcnt lgkmcnt(1)
	v_add_f32_e32 v43, v43, v129
	ds_bpermute_b32 v129, v152, v47
	v_cndmask_b32_e64 v47, -v47, v47, s[4:5]
	s_waitcnt lgkmcnt(1)
	v_add_f32_e32 v44, v44, v131
	ds_bpermute_b32 v131, v152, v48
	v_cndmask_b32_e64 v48, -v48, v48, s[4:5]
	s_waitcnt lgkmcnt(1)
	v_add_f32_e32 v47, v47, v129
	ds_bpermute_b32 v129, v152, v49
	v_cndmask_b32_e64 v49, -v49, v49, s[4:5]
	s_waitcnt lgkmcnt(1)
	v_add_f32_e32 v48, v48, v131
	ds_bpermute_b32 v131, v152, v50
	v_cndmask_b32_e64 v50, -v50, v50, s[4:5]
	s_waitcnt lgkmcnt(1)
	v_add_f32_e32 v49, v49, v129
	ds_bpermute_b32 v129, v152, v51
	v_cndmask_b32_e64 v51, -v51, v51, s[4:5]
	s_waitcnt lgkmcnt(1)
	v_add_f32_e32 v50, v50, v131
	ds_bpermute_b32 v131, v152, v52
	v_cndmask_b32_e64 v52, -v52, v52, s[4:5]
	s_waitcnt lgkmcnt(1)
	v_add_f32_e32 v51, v51, v129
	ds_bpermute_b32 v129, v152, v53
	v_cndmask_b32_e64 v53, -v53, v53, s[4:5]
	s_waitcnt lgkmcnt(1)
	v_add_f32_e32 v52, v52, v131
	ds_bpermute_b32 v131, v152, v54
	v_cndmask_b32_e64 v54, -v54, v54, s[4:5]
	s_waitcnt lgkmcnt(1)
	v_add_f32_e32 v53, v53, v129
	ds_bpermute_b32 v129, v152, v55
	v_cndmask_b32_e64 v55, -v55, v55, s[4:5]
	s_waitcnt lgkmcnt(1)
	v_add_f32_e32 v54, v54, v131
	ds_bpermute_b32 v131, v152, v56
	v_cndmask_b32_e64 v56, -v56, v56, s[4:5]
	s_waitcnt lgkmcnt(1)
	v_add_f32_e32 v55, v55, v129
	ds_bpermute_b32 v129, v152, v57
	v_cndmask_b32_e64 v57, -v57, v57, s[4:5]
	s_waitcnt lgkmcnt(1)
	v_add_f32_e32 v56, v56, v131
	ds_bpermute_b32 v131, v152, v58
	v_cndmask_b32_e64 v58, -v58, v58, s[4:5]
	s_waitcnt lgkmcnt(1)
	v_add_f32_e32 v57, v57, v129
	ds_bpermute_b32 v129, v152, v59
	v_cndmask_b32_e64 v59, -v59, v59, s[4:5]
	s_waitcnt lgkmcnt(1)
	v_add_f32_e32 v58, v58, v131
	ds_bpermute_b32 v131, v152, v60
	v_cndmask_b32_e64 v60, -v60, v60, s[4:5]
	s_waitcnt lgkmcnt(1)
	v_add_f32_e32 v59, v59, v129
	ds_bpermute_b32 v129, v152, v61
	v_cndmask_b32_e64 v61, -v61, v61, s[4:5]
	s_waitcnt lgkmcnt(1)
	v_add_f32_e32 v60, v60, v131
	ds_bpermute_b32 v131, v152, v62
	v_cndmask_b32_e64 v62, -v62, v62, s[4:5]
	s_waitcnt lgkmcnt(1)
	v_add_f32_e32 v61, v61, v129
	ds_bpermute_b32 v129, v152, v63
	v_cndmask_b32_e64 v63, -v63, v63, s[4:5]
	s_waitcnt lgkmcnt(1)
	v_add_f32_e32 v62, v62, v131
	ds_bpermute_b32 v131, v152, v64
	v_cndmask_b32_e64 v64, -v64, v64, s[4:5]
	s_waitcnt lgkmcnt(1)
	v_add_f32_e32 v63, v63, v129
	ds_bpermute_b32 v129, v152, v65
	v_cndmask_b32_e64 v65, -v65, v65, s[4:5]
	s_waitcnt lgkmcnt(1)
	v_add_f32_e32 v64, v64, v131
	ds_bpermute_b32 v131, v152, v66
	v_cndmask_b32_e64 v66, -v66, v66, s[4:5]
	s_waitcnt lgkmcnt(1)
	v_add_f32_e32 v65, v65, v129
	ds_bpermute_b32 v129, v152, v67
	v_cndmask_b32_e64 v67, -v67, v67, s[4:5]
	s_waitcnt lgkmcnt(1)
	v_add_f32_e32 v66, v66, v131
	ds_bpermute_b32 v131, v152, v68
	v_cndmask_b32_e64 v68, -v68, v68, s[4:5]
	s_waitcnt lgkmcnt(1)
	v_add_f32_e32 v67, v67, v129
	ds_bpermute_b32 v129, v152, v69
	v_cndmask_b32_e64 v69, -v69, v69, s[4:5]
	s_waitcnt lgkmcnt(1)
	v_add_f32_e32 v68, v68, v131
	ds_bpermute_b32 v131, v152, v70
	v_cndmask_b32_e64 v70, -v70, v70, s[4:5]
	s_waitcnt lgkmcnt(1)
	v_add_f32_e32 v69, v69, v129
	ds_bpermute_b32 v129, v152, v71
	v_cndmask_b32_e64 v71, -v71, v71, s[4:5]
	s_waitcnt lgkmcnt(1)
	v_add_f32_e32 v70, v70, v131
	ds_bpermute_b32 v131, v152, v72
	v_cndmask_b32_e64 v72, -v72, v72, s[4:5]
	s_waitcnt lgkmcnt(1)
	v_add_f32_e32 v71, v71, v129
	ds_bpermute_b32 v129, v152, v73
	v_cndmask_b32_e64 v73, -v73, v73, s[4:5]
	s_waitcnt lgkmcnt(1)
	v_add_f32_e32 v72, v72, v131
	ds_bpermute_b32 v131, v152, v74
	v_cndmask_b32_e64 v74, -v74, v74, s[4:5]
	s_waitcnt lgkmcnt(1)
	v_add_f32_e32 v73, v73, v129
	ds_bpermute_b32 v129, v152, v75
	v_cndmask_b32_e64 v75, -v75, v75, s[4:5]
	s_waitcnt lgkmcnt(1)
	v_add_f32_e32 v74, v74, v131
	ds_bpermute_b32 v131, v152, v76
	v_cndmask_b32_e64 v76, -v76, v76, s[4:5]
	s_waitcnt lgkmcnt(1)
	v_add_f32_e32 v75, v75, v129
	ds_bpermute_b32 v129, v152, v77
	v_cndmask_b32_e64 v77, -v77, v77, s[4:5]
	s_waitcnt lgkmcnt(1)
	v_add_f32_e32 v76, v76, v131
	ds_bpermute_b32 v131, v152, v78
	v_cndmask_b32_e64 v78, -v78, v78, s[4:5]
	s_waitcnt lgkmcnt(1)
	v_add_f32_e32 v77, v77, v129
	ds_bpermute_b32 v129, v152, v79
	v_cndmask_b32_e64 v79, -v79, v79, s[4:5]
	s_waitcnt lgkmcnt(1)
	v_add_f32_e32 v78, v78, v131
	ds_bpermute_b32 v131, v152, v80
	v_cndmask_b32_e64 v80, -v80, v80, s[4:5]
	s_waitcnt lgkmcnt(1)
	v_add_f32_e32 v79, v79, v129
	ds_bpermute_b32 v129, v152, v81
	v_cndmask_b32_e64 v81, -v81, v81, s[4:5]
	s_waitcnt lgkmcnt(1)
	v_add_f32_e32 v80, v80, v131
	ds_bpermute_b32 v131, v152, v82
	v_cndmask_b32_e64 v82, -v82, v82, s[4:5]
	s_waitcnt lgkmcnt(1)
	v_add_f32_e32 v81, v81, v129
	ds_bpermute_b32 v129, v152, v83
	v_cndmask_b32_e64 v83, -v83, v83, s[4:5]
	s_waitcnt lgkmcnt(1)
	v_add_f32_e32 v82, v82, v131
	ds_bpermute_b32 v131, v152, v84
	v_cndmask_b32_e64 v84, -v84, v84, s[4:5]
	s_waitcnt lgkmcnt(1)
	v_add_f32_e32 v83, v83, v129
	ds_bpermute_b32 v129, v152, v85
	v_cndmask_b32_e64 v85, -v85, v85, s[4:5]
	s_waitcnt lgkmcnt(1)
	v_add_f32_e32 v84, v84, v131
	ds_bpermute_b32 v131, v152, v86
	v_cndmask_b32_e64 v86, -v86, v86, s[4:5]
	s_waitcnt lgkmcnt(1)
	v_add_f32_e32 v85, v85, v129
	ds_bpermute_b32 v129, v152, v87
	v_cndmask_b32_e64 v87, -v87, v87, s[4:5]
	s_waitcnt lgkmcnt(1)
	v_add_f32_e32 v86, v86, v131
	ds_bpermute_b32 v131, v152, v88
	v_cndmask_b32_e64 v88, -v88, v88, s[4:5]
	s_waitcnt lgkmcnt(1)
	v_add_f32_e32 v87, v87, v129
	ds_bpermute_b32 v129, v152, v89
	v_cndmask_b32_e64 v89, -v89, v89, s[4:5]
	s_waitcnt lgkmcnt(1)
	v_add_f32_e32 v88, v88, v131
	ds_bpermute_b32 v131, v152, v90
	v_cndmask_b32_e64 v90, -v90, v90, s[4:5]
	s_waitcnt lgkmcnt(1)
	v_add_f32_e32 v89, v89, v129
	ds_bpermute_b32 v129, v152, v91
	v_cndmask_b32_e64 v91, -v91, v91, s[4:5]
	s_waitcnt lgkmcnt(1)
	v_add_f32_e32 v90, v90, v131
	ds_bpermute_b32 v131, v152, v92
	v_cndmask_b32_e64 v92, -v92, v92, s[4:5]
	s_waitcnt lgkmcnt(1)
	v_add_f32_e32 v91, v91, v129
	ds_bpermute_b32 v129, v152, v93
	v_cndmask_b32_e64 v93, -v93, v93, s[4:5]
	s_waitcnt lgkmcnt(1)
	v_add_f32_e32 v92, v92, v131
	ds_bpermute_b32 v131, v152, v94
	v_cndmask_b32_e64 v94, -v94, v94, s[4:5]
	s_waitcnt lgkmcnt(1)
	v_add_f32_e32 v93, v93, v129
	ds_bpermute_b32 v129, v152, v95
	v_cndmask_b32_e64 v95, -v95, v95, s[4:5]
	s_waitcnt lgkmcnt(1)
	v_add_f32_e32 v94, v94, v131
	ds_bpermute_b32 v131, v152, v96
	v_cndmask_b32_e64 v96, -v96, v96, s[4:5]
	s_waitcnt lgkmcnt(1)
	v_add_f32_e32 v95, v95, v129
	ds_bpermute_b32 v129, v152, v97
	v_cndmask_b32_e64 v97, -v97, v97, s[4:5]
	s_waitcnt lgkmcnt(1)
	v_add_f32_e32 v96, v96, v131
	ds_bpermute_b32 v131, v152, v98
	v_cndmask_b32_e64 v98, -v98, v98, s[4:5]
	s_waitcnt lgkmcnt(1)
	v_add_f32_e32 v97, v97, v129
	ds_bpermute_b32 v129, v152, v99
	v_cndmask_b32_e64 v99, -v99, v99, s[4:5]
	s_waitcnt lgkmcnt(1)
	v_add_f32_e32 v98, v98, v131
	ds_bpermute_b32 v131, v152, v100
	v_cndmask_b32_e64 v100, -v100, v100, s[4:5]
	s_waitcnt lgkmcnt(1)
	v_add_f32_e32 v99, v99, v129
	ds_bpermute_b32 v129, v152, v101
	v_cndmask_b32_e64 v101, -v101, v101, s[4:5]
	s_waitcnt lgkmcnt(1)
	v_add_f32_e32 v100, v100, v131
	ds_bpermute_b32 v131, v152, v102
	v_cndmask_b32_e64 v102, -v102, v102, s[4:5]
	s_waitcnt lgkmcnt(1)
	v_add_f32_e32 v101, v101, v129
	ds_bpermute_b32 v129, v152, v103
	v_cndmask_b32_e64 v103, -v103, v103, s[4:5]
	s_waitcnt lgkmcnt(1)
	v_add_f32_e32 v102, v102, v131
	ds_bpermute_b32 v131, v152, v104
	v_cndmask_b32_e64 v104, -v104, v104, s[4:5]
	s_waitcnt lgkmcnt(1)
	v_add_f32_e32 v103, v103, v129
	ds_bpermute_b32 v129, v152, v105
	v_cndmask_b32_e64 v105, -v105, v105, s[4:5]
	s_waitcnt lgkmcnt(1)
	v_add_f32_e32 v104, v104, v131
	ds_bpermute_b32 v131, v152, v106
	v_cndmask_b32_e64 v106, -v106, v106, s[4:5]
	s_waitcnt lgkmcnt(1)
	v_add_f32_e32 v105, v105, v129
	ds_bpermute_b32 v129, v152, v107
	v_cndmask_b32_e64 v107, -v107, v107, s[4:5]
	s_waitcnt lgkmcnt(1)
	v_add_f32_e32 v106, v106, v131
	ds_bpermute_b32 v131, v152, v108
	v_cndmask_b32_e64 v108, -v108, v108, s[4:5]
	s_waitcnt lgkmcnt(1)
	v_add_f32_e32 v107, v107, v129
	ds_bpermute_b32 v129, v152, v109
	v_cndmask_b32_e64 v109, -v109, v109, s[4:5]
	s_waitcnt lgkmcnt(1)
	v_add_f32_e32 v108, v108, v131
	ds_bpermute_b32 v131, v152, v110
	v_cndmask_b32_e64 v110, -v110, v110, s[4:5]
	s_waitcnt lgkmcnt(1)
	v_add_f32_e32 v109, v109, v129
	ds_bpermute_b32 v129, v152, v111
	v_cndmask_b32_e64 v111, -v111, v111, s[4:5]
	s_waitcnt lgkmcnt(1)
	v_add_f32_e32 v110, v110, v131
	ds_bpermute_b32 v131, v152, v112
	v_cndmask_b32_e64 v112, -v112, v112, s[4:5]
	s_waitcnt lgkmcnt(1)
	v_add_f32_e32 v111, v111, v129
	ds_bpermute_b32 v129, v152, v113
	v_cndmask_b32_e64 v113, -v113, v113, s[4:5]
	s_waitcnt lgkmcnt(1)
	v_add_f32_e32 v112, v112, v131
	ds_bpermute_b32 v131, v152, v114
	v_cndmask_b32_e64 v114, -v114, v114, s[4:5]
	s_waitcnt lgkmcnt(1)
	v_add_f32_e32 v113, v113, v129
	ds_bpermute_b32 v129, v152, v115
	v_cndmask_b32_e64 v115, -v115, v115, s[4:5]
	s_waitcnt lgkmcnt(1)
	v_add_f32_e32 v114, v114, v131
	ds_bpermute_b32 v131, v152, v116
	v_cndmask_b32_e64 v116, -v116, v116, s[4:5]
	s_waitcnt lgkmcnt(1)
	v_add_f32_e32 v115, v115, v129
	ds_bpermute_b32 v129, v152, v117
	v_cndmask_b32_e64 v117, -v117, v117, s[4:5]
	s_waitcnt lgkmcnt(1)
	v_add_f32_e32 v116, v116, v131
	ds_bpermute_b32 v131, v152, v118
	v_cndmask_b32_e64 v118, -v118, v118, s[4:5]
	s_waitcnt lgkmcnt(1)
	v_add_f32_e32 v117, v117, v129
	ds_bpermute_b32 v129, v152, v119
	v_cndmask_b32_e64 v119, -v119, v119, s[4:5]
	s_waitcnt lgkmcnt(1)
	v_add_f32_e32 v118, v118, v131
	ds_bpermute_b32 v131, v152, v120
	v_cndmask_b32_e64 v120, -v120, v120, s[4:5]
	s_waitcnt lgkmcnt(1)
	v_add_f32_e32 v119, v119, v129
	ds_bpermute_b32 v129, v152, v121
	v_cndmask_b32_e64 v121, -v121, v121, s[4:5]
	s_waitcnt lgkmcnt(1)
	v_add_f32_e32 v120, v120, v131
	ds_bpermute_b32 v131, v152, v122
	v_cndmask_b32_e64 v122, -v122, v122, s[4:5]
	s_waitcnt lgkmcnt(1)
	v_add_f32_e32 v121, v121, v129
	ds_bpermute_b32 v129, v152, v123
	v_cndmask_b32_e64 v123, -v123, v123, s[4:5]
	s_waitcnt lgkmcnt(1)
	v_add_f32_e32 v122, v122, v131
	ds_bpermute_b32 v131, v152, v124
	ds_bpermute_b32 v133, v152, v12
	s_waitcnt lgkmcnt(2)
	v_add_f32_e32 v123, v123, v129
	ds_bpermute_b32 v129, v152, v10
	v_cndmask_b32_e64 v10, -v10, v10, s[4:5]
	v_cndmask_b32_e64 v124, -v124, v124, s[4:5]
	v_cndmask_b32_e64 v12, -v12, v12, s[4:5]
	s_waitcnt lgkmcnt(2)
	v_add_f32_e32 v124, v124, v131
	s_waitcnt lgkmcnt(0)
	v_add_f32_e32 v134, v10, v129
	ds_bpermute_b32 v10, v152, v9
	ds_bpermute_b32 v129, v152, v126
	v_cndmask_b32_e64 v9, -v9, v9, s[4:5]
	ds_bpermute_b32 v131, v152, v125
	v_cndmask_b32_e64 v125, -v125, v125, s[4:5]
	s_waitcnt lgkmcnt(2)
	v_add_f32_e32 v136, v9, v10
	ds_bpermute_b32 v9, v152, v8
	v_cndmask_b32_e64 v10, -v126, v126, s[4:5]
	s_waitcnt lgkmcnt(2)
	v_add_f32_e32 v126, v10, v129
	;; [unrolled: 4-line block ×10, first 2 shown]
	v_cndmask_b32_e64 v6, -v146, v146, s[4:5]
	ds_bpermute_b32 v8, v152, v4
	s_waitcnt lgkmcnt(1)
	v_add_f32_e32 v150, v6, v5
	ds_bpermute_b32 v5, v152, v3
	v_cndmask_b32_e64 v3, -v3, v3, s[4:5]
	ds_bpermute_b32 v7, v152, v148
	v_cndmask_b32_e64 v6, -v148, v148, s[4:5]
	v_add_f32_e32 v12, v12, v133
	s_waitcnt lgkmcnt(1)
	v_add_f32_e32 v146, v3, v5
	v_cndmask_b32_e64 v3, -v4, v4, s[4:5]
	v_add_f32_e32 v148, v3, v8
	v_xor_b32_e32 v3, 32, v1
	v_cmp_lt_i32_e64 s[4:5], v3, v2
	v_cndmask_b32_e64 v1, v1, v3, s[4:5]
	v_lshlrev_b32_e32 v154, 2, v1
	ds_bpermute_b32 v1, v154, v11
	ds_bpermute_b32 v3, v154, v12
	v_and_b32_e32 v2, 32, v0
	ds_bpermute_b32 v4, v154, v13
	v_cmp_eq_u32_e64 s[4:5], 0, v2
	ds_bpermute_b32 v5, v154, v14
	s_waitcnt lgkmcnt(4)
	v_add_f32_e32 v152, v6, v7
	v_cndmask_b32_e64 v2, -v11, v11, s[4:5]
	ds_bpermute_b32 v6, v154, v15
	s_waitcnt lgkmcnt(4)
	v_add_f32_e32 v1, v2, v1
	v_cndmask_b32_e64 v2, -v12, v12, s[4:5]
	;; [unrolled: 4-line block ×90, first 2 shown]
	s_waitcnt lgkmcnt(3)
	v_add_f32_e32 v92, v92, v93
	v_cndmask_b32_e64 v93, -v103, v103, s[4:5]
	s_waitcnt lgkmcnt(2)
	v_add_f32_e32 v93, v93, v94
	v_cndmask_b32_e64 v94, -v104, v104, s[4:5]
	s_waitcnt lgkmcnt(1)
	v_add_f32_e32 v94, v94, v95
	ds_bpermute_b32 v95, v154, v106
	v_cndmask_b32_e64 v97, -v105, v105, s[4:5]
	s_waitcnt lgkmcnt(1)
	v_add_f32_e32 v101, v97, v96
	ds_bpermute_b32 v96, v154, v107
	;; [unrolled: 4-line block ×20, first 2 shown]
	v_add_f32_e32 v125, v125, v131
	v_cndmask_b32_e64 v97, -v124, v124, s[4:5]
	s_waitcnt lgkmcnt(1)
	v_add_f32_e32 v120, v97, v95
	ds_bpermute_b32 v95, v154, v125
	v_cndmask_b32_e64 v97, -v134, v134, s[4:5]
	s_waitcnt lgkmcnt(1)
	v_add_f32_e32 v121, v97, v96
	ds_bpermute_b32 v96, v154, v136
	;; [unrolled: 4-line block ×12, first 2 shown]
	v_cndmask_b32_e64 v97, -v132, v132, s[4:5]
	s_waitcnt lgkmcnt(1)
	v_add_f32_e32 v132, v97, v95
	v_cndmask_b32_e64 v95, -v150, v150, s[4:5]
	ds_bpermute_b32 v97, v154, v152
	s_waitcnt lgkmcnt(1)
	v_add_f32_e32 v133, v95, v96
	ds_bpermute_b32 v95, v154, v146
	ds_bpermute_b32 v98, v154, v148
	v_cndmask_b32_e64 v96, -v152, v152, s[4:5]
	s_waitcnt lgkmcnt(2)
	v_add_f32_e32 v134, v96, v97
	v_cndmask_b32_e64 v96, -v146, v146, s[4:5]
	s_waitcnt lgkmcnt(1)
	v_add_f32_e32 v135, v96, v95
	;; [unrolled: 3-line block ×3, first 2 shown]
	v_lshrrev_b32_e32 v95, 6, v0
	v_and_b32_e32 v96, 3, v0
	v_lshrrev_b32_e32 v97, 2, v0
	v_xor_b32_e32 v0, v95, v0
	v_lshl_add_u32 v100, v0, 4, 0
	v_lshl_or_b32 v0, v96, 6, v97
	v_xor_b32_e32 v0, v0, v96
	v_lshl_add_u32 v96, v0, 4, 0
	s_barrier
	ds_write_b128 v100, v[1:4]
	ds_write_b128 v100, v[5:8] offset:4096
	ds_write_b128 v100, v[9:12] offset:8192
	;; [unrolled: 1-line block ×7, first 2 shown]
	s_waitcnt lgkmcnt(0)
	s_barrier
	ds_read_b128 v[137:140], v96
	ds_read_b128 v[141:144], v96 offset:4096
	ds_read_b128 v[145:148], v96 offset:8192
	ds_read_b128 v[149:152], v96 offset:12288
	ds_read_b128 v[153:156], v96 offset:16384
	ds_read_b128 v[157:160], v96 offset:20480
	ds_read_b128 v[161:164], v96 offset:24576
	ds_read_b128 v[165:168], v96 offset:28672
	s_waitcnt lgkmcnt(0)
	s_barrier
	ds_write_b128 v100, v[33:36]
	ds_write_b128 v100, v[37:40] offset:4096
	ds_write_b128 v100, v[41:44] offset:8192
	;; [unrolled: 1-line block ×7, first 2 shown]
	ds_bpermute_b32 v40, v45, v137
	ds_bpermute_b32 v41, v45, v138
	v_cndmask_b32_e64 v42, -v137, v137, s[64:65]
	v_cndmask_b32_e64 v43, -v138, v138, s[64:65]
	;; [unrolled: 1-line block ×3, first 2 shown]
	s_waitcnt lgkmcnt(1)
	v_add_f32_e32 v40, v42, v40
	ds_bpermute_b32 v42, v45, v139
	s_waitcnt lgkmcnt(1)
	v_add_f32_e32 v41, v43, v41
	ds_bpermute_b32 v43, v45, v140
	v_cndmask_b32_e64 v47, -v140, v140, s[64:65]
	v_cndmask_b32_e64 v48, -v141, v141, s[64:65]
	s_waitcnt lgkmcnt(1)
	v_add_f32_e32 v42, v44, v42
	ds_bpermute_b32 v44, v45, v141
	s_waitcnt lgkmcnt(1)
	v_add_f32_e32 v43, v47, v43
	ds_bpermute_b32 v47, v45, v142
	v_cndmask_b32_e64 v49, -v142, v142, s[64:65]
	v_cndmask_b32_e64 v50, -v143, v143, s[64:65]
	;; [unrolled: 8-line block ×10, first 2 shown]
	s_waitcnt lgkmcnt(1)
	v_add_f32_e32 v62, v64, v62
	ds_bpermute_b32 v64, v45, v159
	s_waitcnt lgkmcnt(1)
	v_add_f32_e32 v63, v65, v63
	ds_bpermute_b32 v65, v45, v160
	s_waitcnt lgkmcnt(0)
	s_barrier
	ds_read_b128 v[169:172], v96
	ds_read_b128 v[173:176], v96 offset:4096
	ds_read_b128 v[177:180], v96 offset:8192
	;; [unrolled: 1-line block ×7, first 2 shown]
	s_waitcnt lgkmcnt(0)
	s_barrier
	ds_write_b128 v100, v[67:70]
	ds_write_b128 v100, v[71:74] offset:4096
	ds_write_b128 v100, v[75:78] offset:8192
	ds_write_b128 v100, v[79:82] offset:12288
	ds_write_b128 v100, v[83:86] offset:16384
	ds_write_b128 v100, v[87:90] offset:20480
	ds_write_b128 v100, v[91:94] offset:24576
	ds_write_b128 v100, v[101:104] offset:28672
	v_add_f32_e32 v64, v66, v64
	ds_bpermute_b32 v66, v45, v161
	v_cndmask_b32_e64 v67, -v160, v160, s[64:65]
	v_add_f32_e32 v65, v67, v65
	ds_bpermute_b32 v67, v45, v162
	v_cndmask_b32_e64 v68, -v161, v161, s[64:65]
	s_waitcnt lgkmcnt(1)
	v_add_f32_e32 v66, v68, v66
	ds_bpermute_b32 v68, v45, v163
	v_cndmask_b32_e64 v69, -v162, v162, s[64:65]
	s_waitcnt lgkmcnt(1)
	;; [unrolled: 4-line block ×35, first 2 shown]
	s_barrier
	ds_read_b128 v[201:204], v96
	ds_read_b128 v[205:208], v96 offset:4096
	ds_read_b128 v[209:212], v96 offset:8192
	;; [unrolled: 1-line block ×7, first 2 shown]
	s_waitcnt lgkmcnt(0)
	s_barrier
	ds_write_b128 v100, v[105:108]
	ds_write_b128 v100, v[109:112] offset:4096
	ds_write_b128 v100, v[113:116] offset:8192
	;; [unrolled: 1-line block ×7, first 2 shown]
	v_add_f32_e32 v102, v104, v102
	ds_bpermute_b32 v104, v45, v197
	v_cndmask_b32_e64 v105, -v196, v196, s[64:65]
	v_add_f32_e32 v103, v105, v103
	ds_bpermute_b32 v105, v45, v198
	v_cndmask_b32_e64 v106, -v197, v197, s[64:65]
	s_waitcnt lgkmcnt(1)
	v_add_f32_e32 v104, v106, v104
	ds_bpermute_b32 v106, v45, v199
	v_cndmask_b32_e64 v107, -v198, v198, s[64:65]
	s_waitcnt lgkmcnt(1)
	;; [unrolled: 4-line block ×24, first 2 shown]
	v_add_f32_e32 v127, v129, v127
	ds_bpermute_b32 v129, v45, v222
	ds_bpermute_b32 v131, v45, v223
	v_cndmask_b32_e64 v130, -v221, v221, s[64:65]
	s_waitcnt lgkmcnt(2)
	v_add_f32_e32 v128, v130, v128
	v_cndmask_b32_e64 v130, -v222, v222, s[64:65]
	s_waitcnt lgkmcnt(1)
	v_add_f32_e32 v130, v130, v129
	ds_bpermute_b32 v129, v45, v224
	v_cndmask_b32_e64 v132, -v223, v223, s[64:65]
	s_waitcnt lgkmcnt(1)
	v_add_f32_e32 v132, v132, v131
	ds_bpermute_b32 v131, v45, v32
	;; [unrolled: 4-line block ×9, first 2 shown]
	v_cndmask_b32_e64 v26, -v26, v26, s[64:65]
	s_waitcnt lgkmcnt(0)
	s_barrier
	ds_read_b128 v[36:39], v96
	ds_read_b128 v[28:31], v96 offset:4096
	ds_read_b128 v[20:23], v96 offset:8192
	;; [unrolled: 1-line block ×5, first 2 shown]
	v_add_f32_e32 v148, v26, v24
	s_waitcnt lgkmcnt(5)
	ds_bpermute_b32 v24, v45, v36
	v_cndmask_b32_e64 v26, -v27, v27, s[64:65]
	v_add_f32_e32 v150, v26, v25
	ds_bpermute_b32 v25, v45, v37
	v_cndmask_b32_e64 v26, -v36, v36, s[64:65]
	s_waitcnt lgkmcnt(1)
	v_add_f32_e32 v152, v26, v24
	ds_bpermute_b32 v24, v45, v38
	v_cndmask_b32_e64 v26, -v37, v37, s[64:65]
	s_waitcnt lgkmcnt(1)
	;; [unrolled: 4-line block ×21, first 2 shown]
	v_add_f32_e32 v192, v8, v12
	ds_bpermute_b32 v8, v45, v10
	ds_read_b128 v[4:7], v96 offset:24576
	ds_read_b128 v[0:3], v96 offset:28672
	v_cndmask_b32_e64 v9, -v9, v9, s[64:65]
	s_waitcnt lgkmcnt(3)
	v_add_f32_e32 v193, v9, v13
	ds_bpermute_b32 v9, v45, v11
	v_cndmask_b32_e64 v10, -v10, v10, s[64:65]
	s_waitcnt lgkmcnt(3)
	v_add_f32_e32 v194, v10, v8
	s_waitcnt lgkmcnt(2)
	ds_bpermute_b32 v8, v45, v4
	v_cndmask_b32_e64 v10, -v11, v11, s[64:65]
	s_waitcnt lgkmcnt(1)
	v_add_f32_e32 v195, v10, v9
	ds_bpermute_b32 v9, v45, v5
	v_cndmask_b32_e64 v4, -v4, v4, s[64:65]
	s_waitcnt lgkmcnt(1)
	v_add_f32_e32 v196, v4, v8
	;; [unrolled: 4-line block ×133, first 2 shown]
	v_cndmask_b32_e64 v95, -v201, v201, s[66:67]
	ds_bpermute_b32 v97, v46, v200
	s_waitcnt lgkmcnt(1)
	v_add_f32_e32 v133, v95, v44
	ds_bpermute_b32 v44, v46, v45
	ds_bpermute_b32 v46, v46, v202
	v_cndmask_b32_e64 v45, -v45, v45, s[66:67]
	s_waitcnt lgkmcnt(0)
	s_barrier
	v_add_f32_e32 v135, v45, v44
	v_cndmask_b32_e64 v44, -v202, v202, s[66:67]
	v_add_f32_e32 v136, v44, v46
	ds_write_b128 v96, v[0:3]
	ds_write_b128 v96, v[4:7] offset:4096
	ds_write_b128 v96, v[8:11] offset:8192
	;; [unrolled: 1-line block ×7, first 2 shown]
	s_waitcnt lgkmcnt(0)
	s_barrier
	ds_read_b128 v[24:27], v100
	ds_read_b128 v[28:31], v100 offset:4096
	ds_read_b128 v[16:19], v100 offset:8192
	;; [unrolled: 1-line block ×7, first 2 shown]
	s_waitcnt lgkmcnt(0)
	s_barrier
	ds_write_b128 v96, v[32:35]
	ds_write_b128 v96, v[36:39] offset:4096
	ds_write_b128 v96, v[40:43] offset:8192
	;; [unrolled: 1-line block ×7, first 2 shown]
	s_waitcnt lgkmcnt(0)
	s_barrier
	ds_read_b128 v[56:59], v100
	ds_read_b128 v[60:63], v100 offset:4096
	ds_read_b128 v[48:51], v100 offset:8192
	;; [unrolled: 1-line block ×7, first 2 shown]
	v_cndmask_b32_e64 v95, -v200, v200, s[66:67]
	v_add_f32_e32 v134, v95, v97
	s_waitcnt lgkmcnt(0)
	s_barrier
	ds_write_b128 v96, v[67:70]
	ds_write_b128 v96, v[71:74] offset:4096
	ds_write_b128 v96, v[75:78] offset:8192
	;; [unrolled: 1-line block ×7, first 2 shown]
	s_waitcnt lgkmcnt(0)
	s_barrier
	ds_read_b128 v[88:91], v100
	ds_read_b128 v[92:95], v100 offset:4096
	ds_read_b128 v[80:83], v100 offset:8192
	;; [unrolled: 1-line block ×7, first 2 shown]
	s_waitcnt lgkmcnt(0)
	s_barrier
	ds_write_b128 v96, v[105:108]
	ds_write_b128 v96, v[109:112] offset:4096
	ds_write_b128 v96, v[113:116] offset:8192
	;; [unrolled: 1-line block ×7, first 2 shown]
	s_waitcnt lgkmcnt(0)
	s_barrier
	ds_read_b128 v[120:123], v100
	ds_read_b128 v[124:127], v100 offset:4096
	ds_read_b128 v[112:115], v100 offset:8192
	;; [unrolled: 1-line block ×7, first 2 shown]
	v_add_f32_e32 v217, v25, v29
	v_add_f32_e32 v221, v17, v21
	;; [unrolled: 1-line block ×38, first 2 shown]
	s_waitcnt lgkmcnt(6)
	v_add_f32_e32 v175, v120, v124
	s_waitcnt lgkmcnt(4)
	v_add_f32_e32 v179, v112, v116
	;; [unrolled: 2-line block ×4, first 2 shown]
	v_add_f32_e32 v187, v219, v223
	v_add_f32_e32 v191, v227, v231
	;; [unrolled: 1-line block ×21, first 2 shown]
	buffer_store_dword v128, off, s[80:83], 0 offset:208 ; 4-byte Folded Spill
	v_add_f32_e32 v128, v134, v156
	s_mul_i32 s4, s78, s7
	s_mul_hi_u32 s5, s78, s6
	v_add_f32_e32 v250, v90, v94
	v_add_f32_e32 v254, v82, v86
	;; [unrolled: 1-line block ×14, first 2 shown]
	buffer_store_dword v128, off, s[80:83], 0 offset:212 ; 4-byte Folded Spill
	buffer_store_dword v136, off, s[80:83], 0 offset:8 ; 4-byte Folded Spill
	v_add_f32_e32 v128, v136, v158
	s_add_i32 s4, s5, s4
	s_mul_i32 s5, s79, s6
	v_add_f32_e32 v216, v24, v28
	v_add_f32_e32 v220, v16, v20
	;; [unrolled: 1-line block ×22, first 2 shown]
	buffer_store_dword v128, off, s[80:83], 0 offset:216 ; 4-byte Folded Spill
	v_add_f32_e32 v128, v160, v180
	s_add_i32 s5, s4, s5
	s_mul_i32 s4, s78, s6
	v_add_f32_e32 v184, v216, v220
	v_add_f32_e32 v188, v224, v228
	;; [unrolled: 1-line block ×10, first 2 shown]
	buffer_store_dword v128, off, s[80:83], 0 offset:220 ; 4-byte Folded Spill
	v_add_f32_e32 v128, v162, v181
	s_lshl_b64 s[4:5], s[4:5], 2
	v_add_f32_e32 v130, v184, v188
	v_add_f32_e32 v152, v192, v196
	;; [unrolled: 1-line block ×4, first 2 shown]
	buffer_store_dword v128, off, s[80:83], 0 offset:224 ; 4-byte Folded Spill
	v_add_f32_e32 v128, v164, v182
	s_add_u32 s4, s74, s4
	v_add_f32_e32 v150, v130, v152
	buffer_store_dword v128, off, s[80:83], 0 offset:228 ; 4-byte Folded Spill
	v_add_f32_e32 v128, v166, v183
	s_addc_u32 s5, s75, s5
	buffer_store_dword v128, off, s[80:83], 0 offset:232 ; 4-byte Folded Spill
	s_and_saveexec_b64 s[6:7], s[62:63]
	s_cbranch_execz .LBB12_66
; %bb.65:
	v_add_f32_e32 v128, v187, v191
	v_add_f32_e32 v128, v128, v158
	;; [unrolled: 1-line block ×4, first 2 shown]
	v_mul_f32_e32 v151, s33, v128
	buffer_load_dword v128, off, s[80:83], 0 offset:204 ; 4-byte Folded Reload
	v_add_f32_e32 v136, v134, v156
	v_add_f32_e32 v138, v164, v182
	;; [unrolled: 1-line block ×8, first 2 shown]
	v_mov_b32_e32 v142, v150
	v_mul_f32_e32 v150, s33, v136
	v_mul_f32_e32 v149, s33, v138
	;; [unrolled: 1-line block ×3, first 2 shown]
	s_waitcnt vmcnt(0)
	global_store_dwordx4 v128, v[148:151], s[4:5]
	s_nop 0
	v_mov_b32_e32 v150, v142
.LBB12_66:
	s_or_b64 exec, exec, s[6:7]
	v_sub_f32_e32 v24, v24, v28
	v_sub_f32_e32 v16, v16, v20
	;; [unrolled: 1-line block ×16, first 2 shown]
	v_add_f32_e32 v32, v24, v16
	v_add_f32_e32 v36, v20, v28
	;; [unrolled: 1-line block ×4, first 2 shown]
	v_sub_f32_e32 v26, v26, v30
	v_sub_f32_e32 v18, v18, v22
	;; [unrolled: 1-line block ×8, first 2 shown]
	v_add_f32_e32 v33, v25, v17
	v_add_f32_e32 v37, v21, v29
	;; [unrolled: 1-line block ×6, first 2 shown]
	v_sub_f32_e32 v27, v27, v31
	v_sub_f32_e32 v19, v19, v23
	;; [unrolled: 1-line block ×9, first 2 shown]
	v_add_f32_e32 v34, v26, v18
	v_add_f32_e32 v38, v22, v30
	;; [unrolled: 1-line block ×7, first 2 shown]
	v_sub_f32_e32 v0, v88, v92
	v_sub_f32_e32 v4, v80, v84
	v_sub_f32_e32 v8, v72, v76
	v_sub_f32_e32 v120, v120, v124
	v_sub_f32_e32 v112, v112, v116
	v_sub_f32_e32 v116, v104, v108
	v_sub_f32_e32 v100, v96, v100
	v_add_f32_e32 v35, v27, v19
	v_add_f32_e32 v39, v23, v31
	v_add_f32_e32 v43, v155, v163
	v_add_f32_e32 v51, v140, v148
	v_add_f32_e32 v46, v34, v38
	v_add_f32_e32 v54, v42, v50
	buffer_store_dword v64, off, s[80:83], 0 offset:204 ; 4-byte Folded Spill
	v_add_f32_e32 v64, v45, v53
	v_sub_f32_e32 v1, v89, v93
	v_sub_f32_e32 v5, v81, v85
	v_sub_f32_e32 v9, v73, v77
	v_sub_f32_e32 v13, v65, v69
	v_sub_f32_e32 v121, v121, v125
	v_sub_f32_e32 v113, v113, v117
	v_sub_f32_e32 v117, v105, v109
	v_sub_f32_e32 v101, v97, v101
	v_add_f32_e32 v72, v0, v4
	v_add_f32_e32 v84, v8, v12
	v_add_f32_e32 v88, v120, v112
	v_add_f32_e32 v92, v116, v100
	v_add_f32_e32 v47, v35, v39
	v_add_f32_e32 v55, v43, v51
	buffer_store_dword v64, off, s[80:83], 0 offset:236 ; 4-byte Folded Spill
	v_add_f32_e32 v64, v46, v54
	v_sub_f32_e32 v2, v90, v94
	;; [unrolled: 16-line block ×3, first 2 shown]
	v_sub_f32_e32 v7, v83, v87
	v_sub_f32_e32 v11, v75, v79
	;; [unrolled: 1-line block ×7, first 2 shown]
	v_add_f32_e32 v74, v2, v6
	v_add_f32_e32 v86, v10, v14
	;; [unrolled: 1-line block ×6, first 2 shown]
	buffer_store_dword v64, off, s[80:83], 0 offset:244 ; 4-byte Folded Spill
	v_add_f32_e32 v64, v56, v60
	v_add_f32_e32 v75, v3, v7
	;; [unrolled: 1-line block ×7, first 2 shown]
	buffer_store_dword v64, off, s[80:83], 0 offset:248 ; 4-byte Folded Spill
	v_add_f32_e32 v64, v57, v61
	v_add_f32_e32 v59, v75, v87
	;; [unrolled: 1-line block ×3, first 2 shown]
	buffer_store_dword v64, off, s[80:83], 0 offset:252 ; 4-byte Folded Spill
	v_add_f32_e32 v64, v58, v62
	buffer_store_dword v64, off, s[80:83], 0 offset:256 ; 4-byte Folded Spill
	v_add_f32_e32 v64, v59, v63
	buffer_store_dword v64, off, s[80:83], 0 offset:260 ; 4-byte Folded Spill
	s_and_saveexec_b64 s[6:7], s[60:61]
	s_cbranch_execz .LBB12_68
; %bb.67:
	v_add_f32_e32 v64, v44, v52
	v_add_f32_e32 v65, v56, v60
	;; [unrolled: 1-line block ×12, first 2 shown]
	buffer_load_dword v68, off, s[80:83], 0 offset:200 ; 4-byte Folded Reload
	v_mul_f32_e32 v64, s33, v64
	v_mul_f32_e32 v65, s33, v65
	;; [unrolled: 1-line block ×4, first 2 shown]
	s_waitcnt vmcnt(0)
	global_store_dwordx4 v68, v[64:67], s[4:5]
.LBB12_68:
	s_or_b64 exec, exec, s[6:7]
	v_sub_f32_e32 v96, v216, v220
	v_sub_f32_e32 v97, v217, v221
	;; [unrolled: 1-line block ×32, first 2 shown]
	v_add_f32_e32 v64, v96, v104
	v_add_f32_e32 v65, v97, v105
	;; [unrolled: 1-line block ×24, first 2 shown]
	s_and_saveexec_b64 s[6:7], s[54:55]
	s_cbranch_execz .LBB12_70
; %bb.69:
	buffer_load_dword v129, off, s[80:83], 0 offset:188 ; 4-byte Folded Reload
	v_add_f32_e32 v124, v240, v244
	v_add_f32_e32 v125, v241, v245
	;; [unrolled: 1-line block ×4, first 2 shown]
	v_mul_f32_e32 v124, s33, v124
	v_mul_f32_e32 v125, s33, v125
	;; [unrolled: 1-line block ×4, first 2 shown]
	s_waitcnt vmcnt(0)
	global_store_dwordx4 v129, v[124:127], s[4:5]
.LBB12_70:
	s_or_b64 exec, exec, s[6:7]
	v_sub_f32_e32 v232, v24, v16
	v_sub_f32_e32 v233, v25, v17
	;; [unrolled: 1-line block ×32, first 2 shown]
	v_add_f32_e32 v100, v232, v236
	v_add_f32_e32 v101, v233, v237
	;; [unrolled: 1-line block ×24, first 2 shown]
	s_and_saveexec_b64 s[6:7], s[38:39]
	s_cbranch_execz .LBB12_72
; %bb.71:
	buffer_load_dword v12, off, s[80:83], 0 offset:136 ; 4-byte Folded Reload
	v_add_f32_e32 v8, v16, v20
	v_add_f32_e32 v9, v17, v21
	v_add_f32_e32 v10, v18, v22
	v_add_f32_e32 v11, v19, v23
	v_mul_f32_e32 v8, s33, v8
	v_mul_f32_e32 v9, s33, v9
	v_mul_f32_e32 v10, s33, v10
	v_mul_f32_e32 v11, s33, v11
	s_waitcnt vmcnt(0)
	global_store_dwordx4 v12, v[8:11], s[4:5]
.LBB12_72:
	s_or_b64 exec, exec, s[6:7]
	v_sub_f32_e32 v124, v184, v188
	v_sub_f32_e32 v125, v185, v189
	v_sub_f32_e32 v126, v186, v190
	v_sub_f32_e32 v127, v187, v191
	v_sub_f32_e32 v176, v192, v196
	v_sub_f32_e32 v177, v193, v197
	v_sub_f32_e32 v178, v194, v198
	v_sub_f32_e32 v179, v195, v199
	v_sub_f32_e32 v184, v200, v204
	v_sub_f32_e32 v185, v201, v205
	v_sub_f32_e32 v186, v202, v206
	v_sub_f32_e32 v187, v203, v207
	v_sub_f32_e32 v188, v208, v212
	v_sub_f32_e32 v189, v209, v213
	v_sub_f32_e32 v190, v210, v214
	v_sub_f32_e32 v191, v211, v215
	v_add_f32_e32 v24, v124, v176
	v_add_f32_e32 v25, v125, v177
	v_add_f32_e32 v26, v126, v178
	v_add_f32_e32 v27, v127, v179
	v_add_f32_e32 v28, v184, v188
	v_add_f32_e32 v29, v185, v189
	v_add_f32_e32 v30, v186, v190
	v_add_f32_e32 v31, v187, v191
	s_and_saveexec_b64 s[6:7], s[30:31]
	s_cbranch_execz .LBB12_74
; %bb.73:
	buffer_load_dword v12, off, s[80:83], 0 offset:116 ; 4-byte Folded Reload
	v_add_f32_e32 v8, v24, v28
	v_add_f32_e32 v9, v25, v29
	v_add_f32_e32 v10, v26, v30
	v_add_f32_e32 v11, v27, v31
	v_mul_f32_e32 v8, s33, v8
	v_mul_f32_e32 v9, s33, v9
	v_mul_f32_e32 v10, s33, v10
	v_mul_f32_e32 v11, s33, v11
	s_waitcnt vmcnt(0)
	global_store_dwordx4 v12, v[8:11], s[4:5]
.LBB12_74:
	s_or_b64 exec, exec, s[6:7]
	v_sub_f32_e32 v167, v32, v36
	v_sub_f32_e32 v168, v33, v37
	v_sub_f32_e32 v169, v34, v38
	v_sub_f32_e32 v170, v35, v39
	v_sub_f32_e32 v171, v40, v48
	v_sub_f32_e32 v172, v41, v49
	v_sub_f32_e32 v173, v42, v50
	v_sub_f32_e32 v174, v43, v51
	v_sub_f32_e32 v175, v72, v84
	v_sub_f32_e32 v192, v73, v85
	v_sub_f32_e32 v193, v74, v86
	v_sub_f32_e32 v194, v75, v87
	v_sub_f32_e32 v129, v88, v92
	v_sub_f32_e32 v131, v89, v93
	v_sub_f32_e32 v133, v90, v94
	v_sub_f32_e32 v135, v91, v95
	v_add_f32_e32 v32, v167, v171
	v_add_f32_e32 v33, v168, v172
	v_add_f32_e32 v34, v169, v173
	v_add_f32_e32 v35, v170, v174
	v_add_f32_e32 v36, v175, v129
	v_add_f32_e32 v37, v192, v131
	v_add_f32_e32 v38, v193, v133
	v_add_f32_e32 v39, v194, v135
	;; [unrolled: 40-line block ×4, first 2 shown]
	s_and_saveexec_b64 s[6:7], vcc
	s_cbranch_execz .LBB12_80
; %bb.79:
	buffer_load_dword v4, off, s[80:83], 0 offset:28 ; 4-byte Folded Reload
	v_add_f32_e32 v0, v92, v108
	v_add_f32_e32 v1, v93, v109
	;; [unrolled: 1-line block ×4, first 2 shown]
	v_mul_f32_e32 v0, s33, v0
	v_mul_f32_e32 v1, s33, v1
	v_mul_f32_e32 v2, s33, v2
	v_mul_f32_e32 v3, s33, v3
	s_waitcnt vmcnt(0)
	global_store_dwordx4 v4, v[0:3], s[4:5]
.LBB12_80:
	s_or_b64 exec, exec, s[6:7]
	buffer_load_dword v0, off, s[80:83], 0 offset:8 ; 4-byte Folded Reload
	v_sub_f32_e32 v84, v130, v152
	v_sub_f32_e32 v85, v132, v154
	;; [unrolled: 1-line block ×7, first 2 shown]
	s_waitcnt vmcnt(0)
	v_sub_f32_e32 v87, v0, v158
	s_and_saveexec_b64 s[6:7], s[0:1]
	s_cbranch_execz .LBB12_82
; %bb.81:
	buffer_load_dword v4, off, s[80:83], 0 offset:44 ; 4-byte Folded Reload
	v_add_f32_e32 v0, v84, v104
	v_add_f32_e32 v1, v85, v105
	v_add_f32_e32 v2, v86, v106
	v_add_f32_e32 v3, v87, v107
	v_mul_f32_e32 v0, s33, v0
	v_mul_f32_e32 v1, s33, v1
	v_mul_f32_e32 v2, s33, v2
	v_mul_f32_e32 v3, s33, v3
	s_waitcnt vmcnt(0)
	global_store_dwordx4 v4, v[0:3], s[4:5]
.LBB12_82:
	s_or_b64 exec, exec, s[6:7]
	v_sub_f32_e32 v72, v44, v52
	v_sub_f32_e32 v73, v45, v53
	v_sub_f32_e32 v74, v46, v54
	v_sub_f32_e32 v75, v47, v55
	v_sub_f32_e32 v96, v56, v60
	v_sub_f32_e32 v97, v57, v61
	v_sub_f32_e32 v98, v58, v62
	v_sub_f32_e32 v99, v59, v63
	s_and_saveexec_b64 s[0:1], s[2:3]
	s_cbranch_execz .LBB12_84
; %bb.83:
	buffer_load_dword v4, off, s[80:83], 0 offset:40 ; 4-byte Folded Reload
	v_add_f32_e32 v0, v72, v96
	v_add_f32_e32 v1, v73, v97
	v_add_f32_e32 v2, v74, v98
	v_add_f32_e32 v3, v75, v99
	v_mul_f32_e32 v0, s33, v0
	v_mul_f32_e32 v1, s33, v1
	v_mul_f32_e32 v2, s33, v2
	v_mul_f32_e32 v3, s33, v3
	s_waitcnt vmcnt(0)
	global_store_dwordx4 v4, v[0:3], s[4:5]
.LBB12_84:
	s_or_b64 exec, exec, s[0:1]
	v_sub_f32_e32 v64, v64, v68
	v_sub_f32_e32 v65, v65, v69
	v_sub_f32_e32 v66, v66, v70
	v_sub_f32_e32 v67, v67, v71
	v_sub_f32_e32 v88, v76, v80
	v_sub_f32_e32 v89, v77, v81
	v_sub_f32_e32 v90, v78, v82
	;; [unrolled: 24-line block ×5, first 2 shown]
	v_sub_f32_e32 v63, v194, v135
	s_and_saveexec_b64 s[0:1], s[14:15]
	s_cbranch_execz .LBB12_92
; %bb.91:
	buffer_load_dword v4, off, s[80:83], 0 offset:32 ; 4-byte Folded Reload
	buffer_load_dword v5, off, s[80:83], 0 offset:36 ; 4-byte Folded Reload
	s_waitcnt vmcnt(0)
	v_mov_b32_e32 v5, 0
	v_add_f32_e32 v0, v44, v60
	v_add_f32_e32 v1, v45, v61
	;; [unrolled: 1-line block ×4, first 2 shown]
	v_mov_b32_e32 v6, s5
	v_mul_f32_e32 v0, s33, v0
	v_mul_f32_e32 v1, s33, v1
	;; [unrolled: 1-line block ×4, first 2 shown]
	v_lshlrev_b64 v[4:5], 4, v[4:5]
	v_add_co_u32_e32 v4, vcc, s4, v4
	v_addc_co_u32_e32 v5, vcc, v6, v5, vcc
	global_store_dwordx4 v[4:5], v[0:3], off
.LBB12_92:
	s_or_b64 exec, exec, s[0:1]
	v_sub_f32_e32 v80, v195, v137
	v_sub_f32_e32 v81, v196, v139
	;; [unrolled: 1-line block ×8, first 2 shown]
	s_and_saveexec_b64 s[0:1], s[10:11]
	s_cbranch_execz .LBB12_94
; %bb.93:
	buffer_load_dword v4, off, s[80:83], 0 offset:20 ; 4-byte Folded Reload
	buffer_load_dword v5, off, s[80:83], 0 offset:24 ; 4-byte Folded Reload
	s_waitcnt vmcnt(0)
	v_mov_b32_e32 v5, 0
	v_add_f32_e32 v0, v80, v100
	v_add_f32_e32 v1, v81, v101
	;; [unrolled: 1-line block ×4, first 2 shown]
	v_mov_b32_e32 v6, s5
	v_mul_f32_e32 v0, s33, v0
	v_mul_f32_e32 v1, s33, v1
	;; [unrolled: 1-line block ×4, first 2 shown]
	v_lshlrev_b64 v[4:5], 4, v[4:5]
	v_add_co_u32_e32 v4, vcc, s4, v4
	v_addc_co_u32_e32 v5, vcc, v6, v5, vcc
	global_store_dwordx4 v[4:5], v[0:3], off
.LBB12_94:
	s_or_b64 exec, exec, s[0:1]
	v_sub_f32_e32 v112, v141, v208
	v_sub_f32_e32 v113, v143, v209
	;; [unrolled: 1-line block ×8, first 2 shown]
	s_and_saveexec_b64 s[0:1], s[12:13]
	s_cbranch_execnz .LBB12_112
; %bb.95:
	s_or_b64 exec, exec, s[0:1]
	s_and_saveexec_b64 s[0:1], s[16:17]
	s_cbranch_execnz .LBB12_113
.LBB12_96:
	s_or_b64 exec, exec, s[0:1]
	s_and_saveexec_b64 s[0:1], s[20:21]
	s_cbranch_execnz .LBB12_114
.LBB12_97:
	s_or_b64 exec, exec, s[0:1]
	s_and_saveexec_b64 s[0:1], s[22:23]
	s_cbranch_execnz .LBB12_115
.LBB12_98:
	s_or_b64 exec, exec, s[0:1]
	s_and_saveexec_b64 s[0:1], s[26:27]
	s_cbranch_execnz .LBB12_116
.LBB12_99:
	s_or_b64 exec, exec, s[0:1]
	s_and_saveexec_b64 s[0:1], s[28:29]
	s_cbranch_execnz .LBB12_117
.LBB12_100:
	s_or_b64 exec, exec, s[0:1]
	s_and_saveexec_b64 s[0:1], s[34:35]
	s_cbranch_execnz .LBB12_118
.LBB12_101:
	s_or_b64 exec, exec, s[0:1]
	s_and_saveexec_b64 s[0:1], s[36:37]
	s_cbranch_execnz .LBB12_119
.LBB12_102:
	s_or_b64 exec, exec, s[0:1]
	s_and_saveexec_b64 s[0:1], s[40:41]
	s_cbranch_execnz .LBB12_120
.LBB12_103:
	s_or_b64 exec, exec, s[0:1]
	s_and_saveexec_b64 s[0:1], s[42:43]
	s_cbranch_execnz .LBB12_121
.LBB12_104:
	s_or_b64 exec, exec, s[0:1]
	s_and_saveexec_b64 s[0:1], s[44:45]
	s_cbranch_execnz .LBB12_122
.LBB12_105:
	s_or_b64 exec, exec, s[0:1]
	s_and_saveexec_b64 s[0:1], s[46:47]
	s_cbranch_execnz .LBB12_123
.LBB12_106:
	s_or_b64 exec, exec, s[0:1]
	s_and_saveexec_b64 s[0:1], s[48:49]
	s_cbranch_execnz .LBB12_124
.LBB12_107:
	s_or_b64 exec, exec, s[0:1]
	s_and_saveexec_b64 s[0:1], s[50:51]
	s_cbranch_execnz .LBB12_125
.LBB12_108:
	s_or_b64 exec, exec, s[0:1]
	s_and_saveexec_b64 s[0:1], s[52:53]
	s_cbranch_execnz .LBB12_126
.LBB12_109:
	s_or_b64 exec, exec, s[0:1]
	s_and_saveexec_b64 s[0:1], s[56:57]
	s_cbranch_execnz .LBB12_127
.LBB12_110:
	s_or_b64 exec, exec, s[0:1]
	s_and_saveexec_b64 s[0:1], s[58:59]
	s_cbranch_execnz .LBB12_128
.LBB12_111:
	s_endpgm
.LBB12_112:
	buffer_load_dword v4, off, s[80:83], 0 offset:12 ; 4-byte Folded Reload
	buffer_load_dword v5, off, s[80:83], 0 offset:16 ; 4-byte Folded Reload
	s_waitcnt vmcnt(0)
	v_mov_b32_e32 v5, 0
	v_add_f32_e32 v0, v112, v116
	v_add_f32_e32 v1, v113, v117
	;; [unrolled: 1-line block ×4, first 2 shown]
	v_mov_b32_e32 v6, s5
	v_mul_f32_e32 v0, s33, v0
	v_mul_f32_e32 v1, s33, v1
	;; [unrolled: 1-line block ×4, first 2 shown]
	v_lshlrev_b64 v[4:5], 4, v[4:5]
	v_add_co_u32_e32 v4, vcc, s4, v4
	v_addc_co_u32_e32 v5, vcc, v6, v5, vcc
	global_store_dwordx4 v[4:5], v[0:3], off
	s_or_b64 exec, exec, s[0:1]
	s_and_saveexec_b64 s[0:1], s[16:17]
	s_cbranch_execz .LBB12_96
.LBB12_113:
	buffer_load_dword v0, off, s[80:83], 0 offset:220 ; 4-byte Folded Reload
	buffer_load_dword v1, off, s[80:83], 0 offset:208 ; 4-byte Folded Reload
	;; [unrolled: 1-line block ×3, first 2 shown]
	v_mov_b32_e32 v6, s5
	s_waitcnt vmcnt(2)
	v_sub_f32_e32 v0, v150, v0
	s_waitcnt vmcnt(0)
	v_sub_f32_e32 v1, v1, v2
	buffer_load_dword v2, off, s[80:83], 0 offset:212 ; 4-byte Folded Reload
	buffer_load_dword v3, off, s[80:83], 0 offset:228 ; 4-byte Folded Reload
	v_mul_f32_e32 v0, s33, v0
	v_mul_f32_e32 v1, s33, v1
	s_waitcnt vmcnt(0)
	v_sub_f32_e32 v2, v2, v3
	buffer_load_dword v3, off, s[80:83], 0 offset:216 ; 4-byte Folded Reload
	buffer_load_dword v4, off, s[80:83], 0 offset:232 ; 4-byte Folded Reload
	v_mul_f32_e32 v2, s33, v2
	s_waitcnt vmcnt(0)
	v_sub_f32_e32 v3, v3, v4
	buffer_load_dword v4, off, s[80:83], 0 offset:60 ; 4-byte Folded Reload
	buffer_load_dword v5, off, s[80:83], 0 offset:64 ; 4-byte Folded Reload
	s_waitcnt vmcnt(0)
	v_mov_b32_e32 v5, 0
	v_mul_f32_e32 v3, s33, v3
	v_lshlrev_b64 v[4:5], 4, v[4:5]
	v_add_co_u32_e32 v4, vcc, s4, v4
	v_addc_co_u32_e32 v5, vcc, v6, v5, vcc
	global_store_dwordx4 v[4:5], v[0:3], off
	s_or_b64 exec, exec, s[0:1]
	s_and_saveexec_b64 s[0:1], s[20:21]
	s_cbranch_execz .LBB12_97
.LBB12_114:
	buffer_load_dword v0, off, s[80:83], 0 offset:204 ; 4-byte Folded Reload
	buffer_load_dword v1, off, s[80:83], 0 offset:248 ; 4-byte Folded Reload
	v_mov_b32_e32 v6, s5
	s_waitcnt vmcnt(0)
	v_sub_f32_e32 v0, v0, v1
	buffer_load_dword v1, off, s[80:83], 0 offset:236 ; 4-byte Folded Reload
	buffer_load_dword v2, off, s[80:83], 0 offset:252 ; 4-byte Folded Reload
	v_mul_f32_e32 v0, s33, v0
	s_waitcnt vmcnt(0)
	v_sub_f32_e32 v1, v1, v2
	buffer_load_dword v2, off, s[80:83], 0 offset:240 ; 4-byte Folded Reload
	buffer_load_dword v3, off, s[80:83], 0 offset:256 ; 4-byte Folded Reload
	v_mul_f32_e32 v1, s33, v1
	s_waitcnt vmcnt(0)
	v_sub_f32_e32 v2, v2, v3
	buffer_load_dword v3, off, s[80:83], 0 offset:244 ; 4-byte Folded Reload
	buffer_load_dword v4, off, s[80:83], 0 offset:260 ; 4-byte Folded Reload
	v_mul_f32_e32 v2, s33, v2
	s_waitcnt vmcnt(0)
	v_sub_f32_e32 v3, v3, v4
	buffer_load_dword v4, off, s[80:83], 0 offset:68 ; 4-byte Folded Reload
	buffer_load_dword v5, off, s[80:83], 0 offset:72 ; 4-byte Folded Reload
	s_waitcnt vmcnt(0)
	v_mov_b32_e32 v5, 0
	v_mul_f32_e32 v3, s33, v3
	v_lshlrev_b64 v[4:5], 4, v[4:5]
	v_add_co_u32_e32 v4, vcc, s4, v4
	v_addc_co_u32_e32 v5, vcc, v6, v5, vcc
	global_store_dwordx4 v[4:5], v[0:3], off
	s_or_b64 exec, exec, s[0:1]
	s_and_saveexec_b64 s[0:1], s[22:23]
	s_cbranch_execz .LBB12_98
.LBB12_115:
	buffer_load_dword v4, off, s[80:83], 0 offset:80 ; 4-byte Folded Reload
	buffer_load_dword v5, off, s[80:83], 0 offset:84 ; 4-byte Folded Reload
	s_waitcnt vmcnt(0)
	v_mov_b32_e32 v5, 0
	v_sub_f32_e32 v0, v240, v244
	v_sub_f32_e32 v1, v241, v245
	;; [unrolled: 1-line block ×4, first 2 shown]
	v_mov_b32_e32 v6, s5
	v_mul_f32_e32 v0, s33, v0
	v_mul_f32_e32 v1, s33, v1
	;; [unrolled: 1-line block ×4, first 2 shown]
	v_lshlrev_b64 v[4:5], 4, v[4:5]
	v_add_co_u32_e32 v4, vcc, s4, v4
	v_addc_co_u32_e32 v5, vcc, v6, v5, vcc
	global_store_dwordx4 v[4:5], v[0:3], off
	s_or_b64 exec, exec, s[0:1]
	s_and_saveexec_b64 s[0:1], s[26:27]
	s_cbranch_execz .LBB12_99
.LBB12_116:
	buffer_load_dword v4, off, s[80:83], 0 offset:88 ; 4-byte Folded Reload
	buffer_load_dword v5, off, s[80:83], 0 offset:92 ; 4-byte Folded Reload
	s_waitcnt vmcnt(0)
	v_mov_b32_e32 v5, 0
	v_sub_f32_e32 v0, v16, v20
	v_sub_f32_e32 v1, v17, v21
	;; [unrolled: 1-line block ×4, first 2 shown]
	v_mov_b32_e32 v6, s5
	v_mul_f32_e32 v0, s33, v0
	v_mul_f32_e32 v1, s33, v1
	v_mul_f32_e32 v2, s33, v2
	v_mul_f32_e32 v3, s33, v3
	v_lshlrev_b64 v[4:5], 4, v[4:5]
	v_add_co_u32_e32 v4, vcc, s4, v4
	v_addc_co_u32_e32 v5, vcc, v6, v5, vcc
	global_store_dwordx4 v[4:5], v[0:3], off
	s_or_b64 exec, exec, s[0:1]
	s_and_saveexec_b64 s[0:1], s[28:29]
	s_cbranch_execz .LBB12_100
.LBB12_117:
	buffer_load_dword v4, off, s[80:83], 0 offset:100 ; 4-byte Folded Reload
	buffer_load_dword v5, off, s[80:83], 0 offset:104 ; 4-byte Folded Reload
	s_waitcnt vmcnt(0)
	v_mov_b32_e32 v5, 0
	v_sub_f32_e32 v0, v24, v28
	v_sub_f32_e32 v1, v25, v29
	;; [unrolled: 1-line block ×4, first 2 shown]
	v_mov_b32_e32 v6, s5
	v_mul_f32_e32 v0, s33, v0
	v_mul_f32_e32 v1, s33, v1
	;; [unrolled: 1-line block ×4, first 2 shown]
	v_lshlrev_b64 v[4:5], 4, v[4:5]
	v_add_co_u32_e32 v4, vcc, s4, v4
	v_addc_co_u32_e32 v5, vcc, v6, v5, vcc
	global_store_dwordx4 v[4:5], v[0:3], off
	s_or_b64 exec, exec, s[0:1]
	s_and_saveexec_b64 s[0:1], s[34:35]
	s_cbranch_execz .LBB12_101
.LBB12_118:
	buffer_load_dword v4, off, s[80:83], 0 offset:108 ; 4-byte Folded Reload
	buffer_load_dword v5, off, s[80:83], 0 offset:112 ; 4-byte Folded Reload
	s_waitcnt vmcnt(0)
	v_mov_b32_e32 v5, 0
	v_sub_f32_e32 v0, v32, v36
	v_sub_f32_e32 v1, v33, v37
	;; [unrolled: 1-line block ×4, first 2 shown]
	v_mov_b32_e32 v6, s5
	v_mul_f32_e32 v0, s33, v0
	v_mul_f32_e32 v1, s33, v1
	;; [unrolled: 1-line block ×4, first 2 shown]
	v_lshlrev_b64 v[4:5], 4, v[4:5]
	v_add_co_u32_e32 v4, vcc, s4, v4
	v_addc_co_u32_e32 v5, vcc, v6, v5, vcc
	global_store_dwordx4 v[4:5], v[0:3], off
	s_or_b64 exec, exec, s[0:1]
	s_and_saveexec_b64 s[0:1], s[36:37]
	s_cbranch_execz .LBB12_102
.LBB12_119:
	buffer_load_dword v4, off, s[80:83], 0 offset:120 ; 4-byte Folded Reload
	buffer_load_dword v5, off, s[80:83], 0 offset:124 ; 4-byte Folded Reload
	s_waitcnt vmcnt(0)
	v_mov_b32_e32 v5, 0
	v_sub_f32_e32 v0, v40, v48
	v_sub_f32_e32 v1, v41, v49
	;; [unrolled: 1-line block ×4, first 2 shown]
	v_mov_b32_e32 v6, s5
	v_mul_f32_e32 v0, s33, v0
	v_mul_f32_e32 v1, s33, v1
	;; [unrolled: 1-line block ×4, first 2 shown]
	v_lshlrev_b64 v[4:5], 4, v[4:5]
	v_add_co_u32_e32 v4, vcc, s4, v4
	v_addc_co_u32_e32 v5, vcc, v6, v5, vcc
	global_store_dwordx4 v[4:5], v[0:3], off
	s_or_b64 exec, exec, s[0:1]
	s_and_saveexec_b64 s[0:1], s[40:41]
	s_cbranch_execz .LBB12_103
.LBB12_120:
	buffer_load_dword v4, off, s[80:83], 0 offset:128 ; 4-byte Folded Reload
	buffer_load_dword v5, off, s[80:83], 0 offset:132 ; 4-byte Folded Reload
	s_waitcnt vmcnt(0)
	v_mov_b32_e32 v5, 0
	v_sub_f32_e32 v0, v92, v108
	v_sub_f32_e32 v1, v93, v109
	;; [unrolled: 1-line block ×4, first 2 shown]
	v_mov_b32_e32 v6, s5
	v_mul_f32_e32 v0, s33, v0
	v_mul_f32_e32 v1, s33, v1
	;; [unrolled: 1-line block ×4, first 2 shown]
	v_lshlrev_b64 v[4:5], 4, v[4:5]
	v_add_co_u32_e32 v4, vcc, s4, v4
	v_addc_co_u32_e32 v5, vcc, v6, v5, vcc
	global_store_dwordx4 v[4:5], v[0:3], off
	s_or_b64 exec, exec, s[0:1]
	s_and_saveexec_b64 s[0:1], s[42:43]
	s_cbranch_execz .LBB12_104
.LBB12_121:
	buffer_load_dword v4, off, s[80:83], 0 offset:140 ; 4-byte Folded Reload
	buffer_load_dword v5, off, s[80:83], 0 offset:144 ; 4-byte Folded Reload
	s_waitcnt vmcnt(0)
	v_mov_b32_e32 v5, 0
	v_sub_f32_e32 v0, v84, v104
	v_sub_f32_e32 v1, v85, v105
	;; [unrolled: 1-line block ×4, first 2 shown]
	v_mov_b32_e32 v6, s5
	v_mul_f32_e32 v0, s33, v0
	v_mul_f32_e32 v1, s33, v1
	;; [unrolled: 1-line block ×4, first 2 shown]
	v_lshlrev_b64 v[4:5], 4, v[4:5]
	v_add_co_u32_e32 v4, vcc, s4, v4
	v_addc_co_u32_e32 v5, vcc, v6, v5, vcc
	global_store_dwordx4 v[4:5], v[0:3], off
	s_or_b64 exec, exec, s[0:1]
	s_and_saveexec_b64 s[0:1], s[44:45]
	s_cbranch_execz .LBB12_105
.LBB12_122:
	buffer_load_dword v4, off, s[80:83], 0 offset:148 ; 4-byte Folded Reload
	buffer_load_dword v5, off, s[80:83], 0 offset:152 ; 4-byte Folded Reload
	s_waitcnt vmcnt(0)
	v_mov_b32_e32 v5, 0
	v_sub_f32_e32 v0, v72, v96
	v_sub_f32_e32 v1, v73, v97
	;; [unrolled: 1-line block ×4, first 2 shown]
	v_mov_b32_e32 v6, s5
	v_mul_f32_e32 v0, s33, v0
	v_mul_f32_e32 v1, s33, v1
	;; [unrolled: 1-line block ×4, first 2 shown]
	v_lshlrev_b64 v[4:5], 4, v[4:5]
	v_add_co_u32_e32 v4, vcc, s4, v4
	v_addc_co_u32_e32 v5, vcc, v6, v5, vcc
	global_store_dwordx4 v[4:5], v[0:3], off
	s_or_b64 exec, exec, s[0:1]
	s_and_saveexec_b64 s[0:1], s[46:47]
	s_cbranch_execz .LBB12_106
.LBB12_123:
	buffer_load_dword v4, off, s[80:83], 0 offset:156 ; 4-byte Folded Reload
	buffer_load_dword v5, off, s[80:83], 0 offset:160 ; 4-byte Folded Reload
	s_waitcnt vmcnt(0)
	v_mov_b32_e32 v5, 0
	v_sub_f32_e32 v0, v64, v88
	v_sub_f32_e32 v1, v65, v89
	v_sub_f32_e32 v2, v66, v90
	v_sub_f32_e32 v3, v67, v91
	v_mov_b32_e32 v6, s5
	v_mul_f32_e32 v0, s33, v0
	v_mul_f32_e32 v1, s33, v1
	;; [unrolled: 1-line block ×4, first 2 shown]
	v_lshlrev_b64 v[4:5], 4, v[4:5]
	v_add_co_u32_e32 v4, vcc, s4, v4
	v_addc_co_u32_e32 v5, vcc, v6, v5, vcc
	global_store_dwordx4 v[4:5], v[0:3], off
	s_or_b64 exec, exec, s[0:1]
	s_and_saveexec_b64 s[0:1], s[48:49]
	s_cbranch_execz .LBB12_107
.LBB12_124:
	buffer_load_dword v4, off, s[80:83], 0 offset:164 ; 4-byte Folded Reload
	buffer_load_dword v5, off, s[80:83], 0 offset:168 ; 4-byte Folded Reload
	s_waitcnt vmcnt(0)
	v_mov_b32_e32 v5, 0
	v_sub_f32_e32 v0, v56, v76
	v_sub_f32_e32 v1, v57, v77
	v_sub_f32_e32 v2, v58, v78
	v_sub_f32_e32 v3, v59, v79
	v_mov_b32_e32 v6, s5
	v_mul_f32_e32 v0, s33, v0
	v_mul_f32_e32 v1, s33, v1
	;; [unrolled: 1-line block ×4, first 2 shown]
	v_lshlrev_b64 v[4:5], 4, v[4:5]
	v_add_co_u32_e32 v4, vcc, s4, v4
	v_addc_co_u32_e32 v5, vcc, v6, v5, vcc
	global_store_dwordx4 v[4:5], v[0:3], off
	s_or_b64 exec, exec, s[0:1]
	s_and_saveexec_b64 s[0:1], s[50:51]
	s_cbranch_execz .LBB12_108
.LBB12_125:
	buffer_load_dword v4, off, s[80:83], 0 offset:172 ; 4-byte Folded Reload
	buffer_load_dword v5, off, s[80:83], 0 offset:176 ; 4-byte Folded Reload
	s_waitcnt vmcnt(0)
	v_mov_b32_e32 v5, 0
	v_sub_f32_e32 v0, v52, v68
	v_sub_f32_e32 v1, v53, v69
	;; [unrolled: 1-line block ×4, first 2 shown]
	v_mov_b32_e32 v6, s5
	v_mul_f32_e32 v0, s33, v0
	v_mul_f32_e32 v1, s33, v1
	;; [unrolled: 1-line block ×4, first 2 shown]
	v_lshlrev_b64 v[4:5], 4, v[4:5]
	v_add_co_u32_e32 v4, vcc, s4, v4
	v_addc_co_u32_e32 v5, vcc, v6, v5, vcc
	global_store_dwordx4 v[4:5], v[0:3], off
	s_or_b64 exec, exec, s[0:1]
	s_and_saveexec_b64 s[0:1], s[52:53]
	s_cbranch_execz .LBB12_109
.LBB12_126:
	buffer_load_dword v4, off, s[80:83], 0 offset:180 ; 4-byte Folded Reload
	buffer_load_dword v5, off, s[80:83], 0 offset:184 ; 4-byte Folded Reload
	s_waitcnt vmcnt(0)
	v_mov_b32_e32 v5, 0
	v_sub_f32_e32 v0, v44, v60
	v_sub_f32_e32 v1, v45, v61
	;; [unrolled: 1-line block ×4, first 2 shown]
	v_mov_b32_e32 v6, s5
	v_mul_f32_e32 v0, s33, v0
	v_mul_f32_e32 v1, s33, v1
	;; [unrolled: 1-line block ×4, first 2 shown]
	v_lshlrev_b64 v[4:5], 4, v[4:5]
	v_add_co_u32_e32 v4, vcc, s4, v4
	v_addc_co_u32_e32 v5, vcc, v6, v5, vcc
	global_store_dwordx4 v[4:5], v[0:3], off
	s_or_b64 exec, exec, s[0:1]
	s_and_saveexec_b64 s[0:1], s[56:57]
	s_cbranch_execz .LBB12_110
.LBB12_127:
	buffer_load_dword v4, off, s[80:83], 0 offset:192 ; 4-byte Folded Reload
	buffer_load_dword v5, off, s[80:83], 0 offset:196 ; 4-byte Folded Reload
	s_waitcnt vmcnt(0)
	v_mov_b32_e32 v5, 0
	v_sub_f32_e32 v0, v80, v100
	v_sub_f32_e32 v1, v81, v101
	;; [unrolled: 1-line block ×4, first 2 shown]
	v_mov_b32_e32 v6, s5
	v_mul_f32_e32 v0, s33, v0
	v_mul_f32_e32 v1, s33, v1
	;; [unrolled: 1-line block ×4, first 2 shown]
	v_lshlrev_b64 v[4:5], 4, v[4:5]
	v_add_co_u32_e32 v4, vcc, s4, v4
	v_addc_co_u32_e32 v5, vcc, v6, v5, vcc
	global_store_dwordx4 v[4:5], v[0:3], off
	s_or_b64 exec, exec, s[0:1]
	s_and_saveexec_b64 s[0:1], s[58:59]
	s_cbranch_execz .LBB12_111
.LBB12_128:
	buffer_load_dword v4, off, s[80:83], 0  ; 4-byte Folded Reload
	buffer_load_dword v5, off, s[80:83], 0 offset:4 ; 4-byte Folded Reload
	s_waitcnt vmcnt(0)
	v_mov_b32_e32 v5, 0
	v_sub_f32_e32 v0, v112, v116
	v_sub_f32_e32 v1, v113, v117
	;; [unrolled: 1-line block ×4, first 2 shown]
	v_mov_b32_e32 v6, s5
	v_mul_f32_e32 v0, s33, v0
	v_mul_f32_e32 v1, s33, v1
	v_mul_f32_e32 v2, s33, v2
	v_mul_f32_e32 v3, s33, v3
	v_lshlrev_b64 v[4:5], 4, v[4:5]
	v_add_co_u32_e32 v4, vcc, s4, v4
	v_addc_co_u32_e32 v5, vcc, v6, v5, vcc
	global_store_dwordx4 v[4:5], v[0:3], off
	s_endpgm
	.section	.rodata,"a",@progbits
	.p2align	6, 0x0
	.amdhsa_kernel _Z30fast_hadamard_transform_kernelI37fast_hadamard_transform_kernel_traitsILi256ELi15EfEEv18HadamardParamsBase
		.amdhsa_group_segment_fixed_size 0
		.amdhsa_private_segment_fixed_size 268
		.amdhsa_kernarg_size 312
		.amdhsa_user_sgpr_count 6
		.amdhsa_user_sgpr_private_segment_buffer 1
		.amdhsa_user_sgpr_dispatch_ptr 0
		.amdhsa_user_sgpr_queue_ptr 0
		.amdhsa_user_sgpr_kernarg_segment_ptr 1
		.amdhsa_user_sgpr_dispatch_id 0
		.amdhsa_user_sgpr_flat_scratch_init 0
		.amdhsa_user_sgpr_private_segment_size 0
		.amdhsa_uses_dynamic_stack 0
		.amdhsa_system_sgpr_private_segment_wavefront_offset 1
		.amdhsa_system_sgpr_workgroup_id_x 1
		.amdhsa_system_sgpr_workgroup_id_y 0
		.amdhsa_system_sgpr_workgroup_id_z 0
		.amdhsa_system_sgpr_workgroup_info 0
		.amdhsa_system_vgpr_workitem_id 0
		.amdhsa_next_free_vgpr 256
		.amdhsa_next_free_sgpr 84
		.amdhsa_reserve_vcc 1
		.amdhsa_reserve_flat_scratch 0
		.amdhsa_float_round_mode_32 0
		.amdhsa_float_round_mode_16_64 0
		.amdhsa_float_denorm_mode_32 3
		.amdhsa_float_denorm_mode_16_64 3
		.amdhsa_dx10_clamp 1
		.amdhsa_ieee_mode 1
		.amdhsa_fp16_overflow 0
		.amdhsa_exception_fp_ieee_invalid_op 0
		.amdhsa_exception_fp_denorm_src 0
		.amdhsa_exception_fp_ieee_div_zero 0
		.amdhsa_exception_fp_ieee_overflow 0
		.amdhsa_exception_fp_ieee_underflow 0
		.amdhsa_exception_fp_ieee_inexact 0
		.amdhsa_exception_int_div_zero 0
	.end_amdhsa_kernel
	.section	.text._Z30fast_hadamard_transform_kernelI37fast_hadamard_transform_kernel_traitsILi256ELi15EfEEv18HadamardParamsBase,"axG",@progbits,_Z30fast_hadamard_transform_kernelI37fast_hadamard_transform_kernel_traitsILi256ELi15EfEEv18HadamardParamsBase,comdat
.Lfunc_end12:
	.size	_Z30fast_hadamard_transform_kernelI37fast_hadamard_transform_kernel_traitsILi256ELi15EfEEv18HadamardParamsBase, .Lfunc_end12-_Z30fast_hadamard_transform_kernelI37fast_hadamard_transform_kernel_traitsILi256ELi15EfEEv18HadamardParamsBase
                                        ; -- End function
	.set _Z30fast_hadamard_transform_kernelI37fast_hadamard_transform_kernel_traitsILi256ELi15EfEEv18HadamardParamsBase.num_vgpr, 256
	.set _Z30fast_hadamard_transform_kernelI37fast_hadamard_transform_kernel_traitsILi256ELi15EfEEv18HadamardParamsBase.num_agpr, 0
	.set _Z30fast_hadamard_transform_kernelI37fast_hadamard_transform_kernel_traitsILi256ELi15EfEEv18HadamardParamsBase.numbered_sgpr, 84
	.set _Z30fast_hadamard_transform_kernelI37fast_hadamard_transform_kernel_traitsILi256ELi15EfEEv18HadamardParamsBase.num_named_barrier, 0
	.set _Z30fast_hadamard_transform_kernelI37fast_hadamard_transform_kernel_traitsILi256ELi15EfEEv18HadamardParamsBase.private_seg_size, 268
	.set _Z30fast_hadamard_transform_kernelI37fast_hadamard_transform_kernel_traitsILi256ELi15EfEEv18HadamardParamsBase.uses_vcc, 1
	.set _Z30fast_hadamard_transform_kernelI37fast_hadamard_transform_kernel_traitsILi256ELi15EfEEv18HadamardParamsBase.uses_flat_scratch, 0
	.set _Z30fast_hadamard_transform_kernelI37fast_hadamard_transform_kernel_traitsILi256ELi15EfEEv18HadamardParamsBase.has_dyn_sized_stack, 0
	.set _Z30fast_hadamard_transform_kernelI37fast_hadamard_transform_kernel_traitsILi256ELi15EfEEv18HadamardParamsBase.has_recursion, 0
	.set _Z30fast_hadamard_transform_kernelI37fast_hadamard_transform_kernel_traitsILi256ELi15EfEEv18HadamardParamsBase.has_indirect_call, 0
	.section	.AMDGPU.csdata,"",@progbits
; Kernel info:
; codeLenInByte = 35560
; TotalNumSgprs: 88
; NumVgprs: 256
; ScratchSize: 268
; MemoryBound: 0
; FloatMode: 240
; IeeeMode: 1
; LDSByteSize: 0 bytes/workgroup (compile time only)
; SGPRBlocks: 10
; VGPRBlocks: 63
; NumSGPRsForWavesPerEU: 88
; NumVGPRsForWavesPerEU: 256
; Occupancy: 1
; WaveLimiterHint : 0
; COMPUTE_PGM_RSRC2:SCRATCH_EN: 1
; COMPUTE_PGM_RSRC2:USER_SGPR: 6
; COMPUTE_PGM_RSRC2:TRAP_HANDLER: 0
; COMPUTE_PGM_RSRC2:TGID_X_EN: 1
; COMPUTE_PGM_RSRC2:TGID_Y_EN: 0
; COMPUTE_PGM_RSRC2:TGID_Z_EN: 0
; COMPUTE_PGM_RSRC2:TIDIG_COMP_CNT: 0
	.section	.text._Z30fast_hadamard_transform_kernelI37fast_hadamard_transform_kernel_traitsILi1ELi3E6__halfEEv18HadamardParamsBase,"axG",@progbits,_Z30fast_hadamard_transform_kernelI37fast_hadamard_transform_kernel_traitsILi1ELi3E6__halfEEv18HadamardParamsBase,comdat
	.protected	_Z30fast_hadamard_transform_kernelI37fast_hadamard_transform_kernel_traitsILi1ELi3E6__halfEEv18HadamardParamsBase ; -- Begin function _Z30fast_hadamard_transform_kernelI37fast_hadamard_transform_kernel_traitsILi1ELi3E6__halfEEv18HadamardParamsBase
	.globl	_Z30fast_hadamard_transform_kernelI37fast_hadamard_transform_kernel_traitsILi1ELi3E6__halfEEv18HadamardParamsBase
	.p2align	8
	.type	_Z30fast_hadamard_transform_kernelI37fast_hadamard_transform_kernel_traitsILi1ELi3E6__halfEEv18HadamardParamsBase,@function
_Z30fast_hadamard_transform_kernelI37fast_hadamard_transform_kernel_traitsILi1ELi3E6__halfEEv18HadamardParamsBase: ; @_Z30fast_hadamard_transform_kernelI37fast_hadamard_transform_kernel_traitsILi1ELi3E6__halfEEv18HadamardParamsBase
; %bb.0:
	s_load_dword s0, s[4:5], 0x4
	s_waitcnt lgkmcnt(0)
	s_cmp_eq_u32 s0, 0
	s_cbranch_scc1 .LBB13_2
; %bb.1:
	s_load_dwordx4 s[0:3], s[4:5], 0x10
	s_load_dword s7, s[4:5], 0x20
	s_load_dwordx4 s[8:11], s[4:5], 0x28
	s_ashr_i32 s12, s6, 31
	v_mov_b32_e32 v4, 0
	s_waitcnt lgkmcnt(0)
	s_mul_hi_u32 s4, s2, s6
	s_mul_i32 s5, s2, s12
	s_add_i32 s4, s4, s5
	s_mul_i32 s3, s3, s6
	s_add_i32 s3, s4, s3
	s_mul_i32 s2, s2, s6
	s_lshl_b64 s[2:3], s[2:3], 1
	s_add_u32 s4, s10, s2
	s_addc_u32 s5, s11, s3
	s_mul_hi_u32 s2, s0, s6
	s_mul_i32 s3, s0, s12
	s_add_i32 s2, s2, s3
	s_mul_i32 s1, s1, s6
	s_add_i32 s1, s2, s1
	s_mul_i32 s0, s0, s6
	s_lshl_b64 s[0:1], s[0:1], 1
	s_add_u32 s0, s8, s0
	s_addc_u32 s1, s9, s1
	s_load_dwordx4 s[0:3], s[0:1], 0x0
	s_waitcnt lgkmcnt(0)
	s_lshr_b32 s6, s0, 16
	s_lshr_b32 s8, s1, 16
	;; [unrolled: 1-line block ×4, first 2 shown]
	v_cvt_f32_f16_e32 v0, s0
	v_cvt_f32_f16_e32 v1, s6
	;; [unrolled: 1-line block ×8, first 2 shown]
	v_sub_f32_e32 v9, v0, v1
	v_sub_f32_e32 v10, v2, v3
	;; [unrolled: 1-line block ×3, first 2 shown]
	v_add_f32_e32 v0, v0, v1
	v_add_f32_e32 v1, v2, v3
	;; [unrolled: 1-line block ×4, first 2 shown]
	v_sub_f32_e32 v13, v7, v8
	v_sub_f32_e32 v2, v0, v1
	;; [unrolled: 1-line block ×4, first 2 shown]
	v_add_f32_e32 v6, v2, v6
	v_add_f32_e32 v2, v9, v10
	;; [unrolled: 1-line block ×5, first 2 shown]
	v_sub_f32_e32 v11, v9, v10
	v_sub_f32_e32 v14, v12, v13
	;; [unrolled: 1-line block ×3, first 2 shown]
	v_add_f32_e32 v8, v2, v8
	v_sub_f32_e32 v2, v0, v1
	v_add_f32_e32 v0, v0, v1
	v_sub_f32_e32 v15, v11, v14
	v_add_f32_e32 v11, v11, v14
	v_fma_mixlo_f16 v3, s7, v7, 0
	v_fma_mixlo_f16 v2, s7, v2, 0
	v_fma_mixlo_f16 v1, s7, v6, 0
	v_fma_mixlo_f16 v0, s7, v0, 0
	v_fma_mixhi_f16 v3, s7, v15, 0
	v_fma_mixhi_f16 v2, s7, v9, 0
	v_fma_mixhi_f16 v1, s7, v11, 0
	v_fma_mixhi_f16 v0, s7, v8, 0
	global_store_dwordx4 v4, v[0:3], s[4:5]
.LBB13_2:
	s_endpgm
	.section	.rodata,"a",@progbits
	.p2align	6, 0x0
	.amdhsa_kernel _Z30fast_hadamard_transform_kernelI37fast_hadamard_transform_kernel_traitsILi1ELi3E6__halfEEv18HadamardParamsBase
		.amdhsa_group_segment_fixed_size 0
		.amdhsa_private_segment_fixed_size 0
		.amdhsa_kernarg_size 56
		.amdhsa_user_sgpr_count 6
		.amdhsa_user_sgpr_private_segment_buffer 1
		.amdhsa_user_sgpr_dispatch_ptr 0
		.amdhsa_user_sgpr_queue_ptr 0
		.amdhsa_user_sgpr_kernarg_segment_ptr 1
		.amdhsa_user_sgpr_dispatch_id 0
		.amdhsa_user_sgpr_flat_scratch_init 0
		.amdhsa_user_sgpr_private_segment_size 0
		.amdhsa_uses_dynamic_stack 0
		.amdhsa_system_sgpr_private_segment_wavefront_offset 0
		.amdhsa_system_sgpr_workgroup_id_x 1
		.amdhsa_system_sgpr_workgroup_id_y 0
		.amdhsa_system_sgpr_workgroup_id_z 0
		.amdhsa_system_sgpr_workgroup_info 0
		.amdhsa_system_vgpr_workitem_id 0
		.amdhsa_next_free_vgpr 16
		.amdhsa_next_free_sgpr 13
		.amdhsa_reserve_vcc 0
		.amdhsa_reserve_flat_scratch 0
		.amdhsa_float_round_mode_32 0
		.amdhsa_float_round_mode_16_64 0
		.amdhsa_float_denorm_mode_32 3
		.amdhsa_float_denorm_mode_16_64 3
		.amdhsa_dx10_clamp 1
		.amdhsa_ieee_mode 1
		.amdhsa_fp16_overflow 0
		.amdhsa_exception_fp_ieee_invalid_op 0
		.amdhsa_exception_fp_denorm_src 0
		.amdhsa_exception_fp_ieee_div_zero 0
		.amdhsa_exception_fp_ieee_overflow 0
		.amdhsa_exception_fp_ieee_underflow 0
		.amdhsa_exception_fp_ieee_inexact 0
		.amdhsa_exception_int_div_zero 0
	.end_amdhsa_kernel
	.section	.text._Z30fast_hadamard_transform_kernelI37fast_hadamard_transform_kernel_traitsILi1ELi3E6__halfEEv18HadamardParamsBase,"axG",@progbits,_Z30fast_hadamard_transform_kernelI37fast_hadamard_transform_kernel_traitsILi1ELi3E6__halfEEv18HadamardParamsBase,comdat
.Lfunc_end13:
	.size	_Z30fast_hadamard_transform_kernelI37fast_hadamard_transform_kernel_traitsILi1ELi3E6__halfEEv18HadamardParamsBase, .Lfunc_end13-_Z30fast_hadamard_transform_kernelI37fast_hadamard_transform_kernel_traitsILi1ELi3E6__halfEEv18HadamardParamsBase
                                        ; -- End function
	.set _Z30fast_hadamard_transform_kernelI37fast_hadamard_transform_kernel_traitsILi1ELi3E6__halfEEv18HadamardParamsBase.num_vgpr, 16
	.set _Z30fast_hadamard_transform_kernelI37fast_hadamard_transform_kernel_traitsILi1ELi3E6__halfEEv18HadamardParamsBase.num_agpr, 0
	.set _Z30fast_hadamard_transform_kernelI37fast_hadamard_transform_kernel_traitsILi1ELi3E6__halfEEv18HadamardParamsBase.numbered_sgpr, 13
	.set _Z30fast_hadamard_transform_kernelI37fast_hadamard_transform_kernel_traitsILi1ELi3E6__halfEEv18HadamardParamsBase.num_named_barrier, 0
	.set _Z30fast_hadamard_transform_kernelI37fast_hadamard_transform_kernel_traitsILi1ELi3E6__halfEEv18HadamardParamsBase.private_seg_size, 0
	.set _Z30fast_hadamard_transform_kernelI37fast_hadamard_transform_kernel_traitsILi1ELi3E6__halfEEv18HadamardParamsBase.uses_vcc, 0
	.set _Z30fast_hadamard_transform_kernelI37fast_hadamard_transform_kernel_traitsILi1ELi3E6__halfEEv18HadamardParamsBase.uses_flat_scratch, 0
	.set _Z30fast_hadamard_transform_kernelI37fast_hadamard_transform_kernel_traitsILi1ELi3E6__halfEEv18HadamardParamsBase.has_dyn_sized_stack, 0
	.set _Z30fast_hadamard_transform_kernelI37fast_hadamard_transform_kernel_traitsILi1ELi3E6__halfEEv18HadamardParamsBase.has_recursion, 0
	.set _Z30fast_hadamard_transform_kernelI37fast_hadamard_transform_kernel_traitsILi1ELi3E6__halfEEv18HadamardParamsBase.has_indirect_call, 0
	.section	.AMDGPU.csdata,"",@progbits
; Kernel info:
; codeLenInByte = 360
; TotalNumSgprs: 17
; NumVgprs: 16
; ScratchSize: 0
; MemoryBound: 0
; FloatMode: 240
; IeeeMode: 1
; LDSByteSize: 0 bytes/workgroup (compile time only)
; SGPRBlocks: 2
; VGPRBlocks: 3
; NumSGPRsForWavesPerEU: 17
; NumVGPRsForWavesPerEU: 16
; Occupancy: 10
; WaveLimiterHint : 0
; COMPUTE_PGM_RSRC2:SCRATCH_EN: 0
; COMPUTE_PGM_RSRC2:USER_SGPR: 6
; COMPUTE_PGM_RSRC2:TRAP_HANDLER: 0
; COMPUTE_PGM_RSRC2:TGID_X_EN: 1
; COMPUTE_PGM_RSRC2:TGID_Y_EN: 0
; COMPUTE_PGM_RSRC2:TGID_Z_EN: 0
; COMPUTE_PGM_RSRC2:TIDIG_COMP_CNT: 0
	.section	.text._Z30fast_hadamard_transform_kernelI37fast_hadamard_transform_kernel_traitsILi2ELi4E6__halfEEv18HadamardParamsBase,"axG",@progbits,_Z30fast_hadamard_transform_kernelI37fast_hadamard_transform_kernel_traitsILi2ELi4E6__halfEEv18HadamardParamsBase,comdat
	.protected	_Z30fast_hadamard_transform_kernelI37fast_hadamard_transform_kernel_traitsILi2ELi4E6__halfEEv18HadamardParamsBase ; -- Begin function _Z30fast_hadamard_transform_kernelI37fast_hadamard_transform_kernel_traitsILi2ELi4E6__halfEEv18HadamardParamsBase
	.globl	_Z30fast_hadamard_transform_kernelI37fast_hadamard_transform_kernel_traitsILi2ELi4E6__halfEEv18HadamardParamsBase
	.p2align	8
	.type	_Z30fast_hadamard_transform_kernelI37fast_hadamard_transform_kernel_traitsILi2ELi4E6__halfEEv18HadamardParamsBase,@function
_Z30fast_hadamard_transform_kernelI37fast_hadamard_transform_kernel_traitsILi2ELi4E6__halfEEv18HadamardParamsBase: ; @_Z30fast_hadamard_transform_kernelI37fast_hadamard_transform_kernel_traitsILi2ELi4E6__halfEEv18HadamardParamsBase
; %bb.0:
	s_load_dword s0, s[4:5], 0x4
	v_lshlrev_b32_e32 v1, 3, v0
	s_ashr_i32 s2, s6, 31
	v_mov_b32_e32 v2, 0
	v_mov_b32_e32 v3, 0
	s_waitcnt lgkmcnt(0)
	v_cmp_gt_u32_e32 vcc, s0, v1
	v_lshlrev_b32_e32 v1, 4, v0
	v_mov_b32_e32 v4, 0
	v_mov_b32_e32 v5, 0
	;; [unrolled: 1-line block ×6, first 2 shown]
	s_and_saveexec_b64 s[0:1], vcc
	s_cbranch_execz .LBB14_2
; %bb.1:
	s_load_dwordx2 s[8:9], s[4:5], 0x10
	s_load_dwordx2 s[10:11], s[4:5], 0x28
	s_waitcnt lgkmcnt(0)
	s_mul_i32 s3, s8, s2
	s_mul_hi_u32 s7, s8, s6
	s_mul_i32 s9, s9, s6
	s_add_i32 s3, s7, s3
	s_mul_i32 s8, s8, s6
	s_add_i32 s9, s3, s9
	s_lshl_b64 s[8:9], s[8:9], 1
	s_add_u32 s8, s10, s8
	s_addc_u32 s9, s11, s9
	global_load_dwordx4 v[10:13], v1, s[8:9]
	s_waitcnt vmcnt(0)
	v_cvt_f32_f16_e32 v9, v10
	v_cvt_f32_f16_sdwa v8, v10 dst_sel:DWORD dst_unused:UNUSED_PAD src0_sel:WORD_1
	v_cvt_f32_f16_e32 v7, v11
	v_cvt_f32_f16_sdwa v6, v11 dst_sel:DWORD dst_unused:UNUSED_PAD src0_sel:WORD_1
	;; [unrolled: 2-line block ×4, first 2 shown]
.LBB14_2:
	s_or_b64 exec, exec, s[0:1]
	v_add_f32_e32 v10, v8, v9
	v_sub_f32_e32 v8, v9, v8
	v_add_f32_e32 v9, v6, v7
	v_sub_f32_e32 v6, v7, v6
	;; [unrolled: 2-line block ×7, first 2 shown]
	v_sub_f32_e32 v12, v4, v2
	v_add_f32_e32 v7, v2, v4
	v_add_f32_e32 v2, v6, v3
	v_sub_f32_e32 v5, v3, v6
	v_add_f32_e32 v4, v11, v9
	v_sub_f32_e32 v9, v9, v11
	;; [unrolled: 2-line block ×3, first 2 shown]
	v_mbcnt_lo_u32_b32 v8, -1, 0
	v_mbcnt_hi_u32_b32 v8, -1, v8
	v_and_b32_e32 v12, 64, v8
	v_add_f32_e32 v3, v7, v10
	v_sub_f32_e32 v7, v10, v7
	v_xor_b32_e32 v10, 1, v8
	v_add_u32_e32 v12, 64, v12
	v_cmp_lt_i32_e64 s[0:1], v10, v12
	v_cndmask_b32_e64 v8, v8, v10, s[0:1]
	v_lshlrev_b32_e32 v17, 2, v8
	ds_bpermute_b32 v8, v17, v2
	ds_bpermute_b32 v10, v17, v3
	;; [unrolled: 1-line block ×8, first 2 shown]
	s_and_saveexec_b64 s[0:1], vcc
	s_cbranch_execz .LBB14_4
; %bb.3:
	s_load_dwordx2 s[0:1], s[4:5], 0x18
	s_load_dwordx2 s[8:9], s[4:5], 0x30
	s_load_dword s3, s[4:5], 0x20
	v_cmp_eq_u32_e32 vcc, 0, v0
	v_cndmask_b32_e64 v9, -v9, v9, vcc
	s_waitcnt lgkmcnt(0)
	s_mul_i32 s2, s0, s2
	s_mul_hi_u32 s4, s0, s6
	s_mul_i32 s1, s1, s6
	s_add_i32 s2, s4, s2
	s_add_i32 s1, s2, s1
	s_mul_i32 s0, s0, s6
	v_cndmask_b32_e64 v5, -v5, v5, vcc
	v_cndmask_b32_e64 v4, -v4, v4, vcc
	;; [unrolled: 1-line block ×3, first 2 shown]
	s_lshl_b64 s[0:1], s[0:1], 1
	v_cndmask_b32_e64 v0, -v11, v11, vcc
	v_add_f32_e32 v9, v9, v16
	v_cndmask_b32_e64 v7, -v7, v7, vcc
	v_add_f32_e32 v11, v5, v14
	;; [unrolled: 2-line block ×4, first 2 shown]
	s_add_u32 s0, s8, s0
	v_add_f32_e32 v0, v0, v17
	v_add_f32_e32 v7, v7, v15
	;; [unrolled: 1-line block ×4, first 2 shown]
	v_fma_mixlo_f16 v5, s3, v9, 0
	v_fma_mixlo_f16 v4, s3, v11, 0
	;; [unrolled: 1-line block ×4, first 2 shown]
	s_addc_u32 s1, s9, s1
	v_fma_mixhi_f16 v5, s3, v0, 0
	v_fma_mixhi_f16 v4, s3, v7, 0
	;; [unrolled: 1-line block ×4, first 2 shown]
	global_store_dwordx4 v1, v[2:5], s[0:1]
.LBB14_4:
	s_endpgm
	.section	.rodata,"a",@progbits
	.p2align	6, 0x0
	.amdhsa_kernel _Z30fast_hadamard_transform_kernelI37fast_hadamard_transform_kernel_traitsILi2ELi4E6__halfEEv18HadamardParamsBase
		.amdhsa_group_segment_fixed_size 0
		.amdhsa_private_segment_fixed_size 0
		.amdhsa_kernarg_size 56
		.amdhsa_user_sgpr_count 6
		.amdhsa_user_sgpr_private_segment_buffer 1
		.amdhsa_user_sgpr_dispatch_ptr 0
		.amdhsa_user_sgpr_queue_ptr 0
		.amdhsa_user_sgpr_kernarg_segment_ptr 1
		.amdhsa_user_sgpr_dispatch_id 0
		.amdhsa_user_sgpr_flat_scratch_init 0
		.amdhsa_user_sgpr_private_segment_size 0
		.amdhsa_uses_dynamic_stack 0
		.amdhsa_system_sgpr_private_segment_wavefront_offset 0
		.amdhsa_system_sgpr_workgroup_id_x 1
		.amdhsa_system_sgpr_workgroup_id_y 0
		.amdhsa_system_sgpr_workgroup_id_z 0
		.amdhsa_system_sgpr_workgroup_info 0
		.amdhsa_system_vgpr_workitem_id 0
		.amdhsa_next_free_vgpr 18
		.amdhsa_next_free_sgpr 12
		.amdhsa_reserve_vcc 1
		.amdhsa_reserve_flat_scratch 0
		.amdhsa_float_round_mode_32 0
		.amdhsa_float_round_mode_16_64 0
		.amdhsa_float_denorm_mode_32 3
		.amdhsa_float_denorm_mode_16_64 3
		.amdhsa_dx10_clamp 1
		.amdhsa_ieee_mode 1
		.amdhsa_fp16_overflow 0
		.amdhsa_exception_fp_ieee_invalid_op 0
		.amdhsa_exception_fp_denorm_src 0
		.amdhsa_exception_fp_ieee_div_zero 0
		.amdhsa_exception_fp_ieee_overflow 0
		.amdhsa_exception_fp_ieee_underflow 0
		.amdhsa_exception_fp_ieee_inexact 0
		.amdhsa_exception_int_div_zero 0
	.end_amdhsa_kernel
	.section	.text._Z30fast_hadamard_transform_kernelI37fast_hadamard_transform_kernel_traitsILi2ELi4E6__halfEEv18HadamardParamsBase,"axG",@progbits,_Z30fast_hadamard_transform_kernelI37fast_hadamard_transform_kernel_traitsILi2ELi4E6__halfEEv18HadamardParamsBase,comdat
.Lfunc_end14:
	.size	_Z30fast_hadamard_transform_kernelI37fast_hadamard_transform_kernel_traitsILi2ELi4E6__halfEEv18HadamardParamsBase, .Lfunc_end14-_Z30fast_hadamard_transform_kernelI37fast_hadamard_transform_kernel_traitsILi2ELi4E6__halfEEv18HadamardParamsBase
                                        ; -- End function
	.set _Z30fast_hadamard_transform_kernelI37fast_hadamard_transform_kernel_traitsILi2ELi4E6__halfEEv18HadamardParamsBase.num_vgpr, 18
	.set _Z30fast_hadamard_transform_kernelI37fast_hadamard_transform_kernel_traitsILi2ELi4E6__halfEEv18HadamardParamsBase.num_agpr, 0
	.set _Z30fast_hadamard_transform_kernelI37fast_hadamard_transform_kernel_traitsILi2ELi4E6__halfEEv18HadamardParamsBase.numbered_sgpr, 12
	.set _Z30fast_hadamard_transform_kernelI37fast_hadamard_transform_kernel_traitsILi2ELi4E6__halfEEv18HadamardParamsBase.num_named_barrier, 0
	.set _Z30fast_hadamard_transform_kernelI37fast_hadamard_transform_kernel_traitsILi2ELi4E6__halfEEv18HadamardParamsBase.private_seg_size, 0
	.set _Z30fast_hadamard_transform_kernelI37fast_hadamard_transform_kernel_traitsILi2ELi4E6__halfEEv18HadamardParamsBase.uses_vcc, 1
	.set _Z30fast_hadamard_transform_kernelI37fast_hadamard_transform_kernel_traitsILi2ELi4E6__halfEEv18HadamardParamsBase.uses_flat_scratch, 0
	.set _Z30fast_hadamard_transform_kernelI37fast_hadamard_transform_kernel_traitsILi2ELi4E6__halfEEv18HadamardParamsBase.has_dyn_sized_stack, 0
	.set _Z30fast_hadamard_transform_kernelI37fast_hadamard_transform_kernel_traitsILi2ELi4E6__halfEEv18HadamardParamsBase.has_recursion, 0
	.set _Z30fast_hadamard_transform_kernelI37fast_hadamard_transform_kernel_traitsILi2ELi4E6__halfEEv18HadamardParamsBase.has_indirect_call, 0
	.section	.AMDGPU.csdata,"",@progbits
; Kernel info:
; codeLenInByte = 644
; TotalNumSgprs: 16
; NumVgprs: 18
; ScratchSize: 0
; MemoryBound: 0
; FloatMode: 240
; IeeeMode: 1
; LDSByteSize: 0 bytes/workgroup (compile time only)
; SGPRBlocks: 1
; VGPRBlocks: 4
; NumSGPRsForWavesPerEU: 16
; NumVGPRsForWavesPerEU: 18
; Occupancy: 10
; WaveLimiterHint : 0
; COMPUTE_PGM_RSRC2:SCRATCH_EN: 0
; COMPUTE_PGM_RSRC2:USER_SGPR: 6
; COMPUTE_PGM_RSRC2:TRAP_HANDLER: 0
; COMPUTE_PGM_RSRC2:TGID_X_EN: 1
; COMPUTE_PGM_RSRC2:TGID_Y_EN: 0
; COMPUTE_PGM_RSRC2:TGID_Z_EN: 0
; COMPUTE_PGM_RSRC2:TIDIG_COMP_CNT: 0
	.section	.text._Z30fast_hadamard_transform_kernelI37fast_hadamard_transform_kernel_traitsILi4ELi5E6__halfEEv18HadamardParamsBase,"axG",@progbits,_Z30fast_hadamard_transform_kernelI37fast_hadamard_transform_kernel_traitsILi4ELi5E6__halfEEv18HadamardParamsBase,comdat
	.protected	_Z30fast_hadamard_transform_kernelI37fast_hadamard_transform_kernel_traitsILi4ELi5E6__halfEEv18HadamardParamsBase ; -- Begin function _Z30fast_hadamard_transform_kernelI37fast_hadamard_transform_kernel_traitsILi4ELi5E6__halfEEv18HadamardParamsBase
	.globl	_Z30fast_hadamard_transform_kernelI37fast_hadamard_transform_kernel_traitsILi4ELi5E6__halfEEv18HadamardParamsBase
	.p2align	8
	.type	_Z30fast_hadamard_transform_kernelI37fast_hadamard_transform_kernel_traitsILi4ELi5E6__halfEEv18HadamardParamsBase,@function
_Z30fast_hadamard_transform_kernelI37fast_hadamard_transform_kernel_traitsILi4ELi5E6__halfEEv18HadamardParamsBase: ; @_Z30fast_hadamard_transform_kernelI37fast_hadamard_transform_kernel_traitsILi4ELi5E6__halfEEv18HadamardParamsBase
; %bb.0:
	s_load_dword s0, s[4:5], 0x4
	v_lshlrev_b32_e32 v1, 3, v0
	s_ashr_i32 s2, s6, 31
	v_mov_b32_e32 v2, 0
	v_mov_b32_e32 v3, 0
	s_waitcnt lgkmcnt(0)
	v_cmp_gt_u32_e32 vcc, s0, v1
	v_lshlrev_b32_e32 v1, 4, v0
	v_mov_b32_e32 v4, 0
	v_mov_b32_e32 v5, 0
	;; [unrolled: 1-line block ×6, first 2 shown]
	s_and_saveexec_b64 s[0:1], vcc
	s_cbranch_execz .LBB15_2
; %bb.1:
	s_load_dwordx2 s[8:9], s[4:5], 0x10
	s_load_dwordx2 s[10:11], s[4:5], 0x28
	s_waitcnt lgkmcnt(0)
	s_mul_i32 s3, s8, s2
	s_mul_hi_u32 s7, s8, s6
	s_mul_i32 s9, s9, s6
	s_add_i32 s3, s7, s3
	s_mul_i32 s8, s8, s6
	s_add_i32 s9, s3, s9
	s_lshl_b64 s[8:9], s[8:9], 1
	s_add_u32 s8, s10, s8
	s_addc_u32 s9, s11, s9
	global_load_dwordx4 v[10:13], v1, s[8:9]
	s_waitcnt vmcnt(0)
	v_cvt_f32_f16_e32 v9, v10
	v_cvt_f32_f16_sdwa v8, v10 dst_sel:DWORD dst_unused:UNUSED_PAD src0_sel:WORD_1
	v_cvt_f32_f16_e32 v7, v11
	v_cvt_f32_f16_sdwa v6, v11 dst_sel:DWORD dst_unused:UNUSED_PAD src0_sel:WORD_1
	;; [unrolled: 2-line block ×4, first 2 shown]
.LBB15_2:
	s_or_b64 exec, exec, s[0:1]
	v_add_f32_e32 v10, v8, v9
	v_sub_f32_e32 v8, v9, v8
	v_add_f32_e32 v9, v6, v7
	v_sub_f32_e32 v6, v7, v6
	;; [unrolled: 2-line block ×12, first 2 shown]
	v_mbcnt_lo_u32_b32 v2, -1, 0
	v_mbcnt_hi_u32_b32 v12, -1, v2
	v_and_b32_e32 v2, 64, v12
	v_add_u32_e32 v14, 64, v2
	v_xor_b32_e32 v2, 1, v12
	v_cmp_lt_i32_e64 s[0:1], v2, v14
	v_cndmask_b32_e64 v2, v12, v2, s[0:1]
	v_lshlrev_b32_e32 v13, 2, v2
	ds_bpermute_b32 v2, v13, v4
	v_and_b32_e32 v6, 1, v0
	v_cmp_eq_u32_e64 s[0:1], 0, v6
	v_cndmask_b32_e64 v4, -v4, v4, s[0:1]
	ds_bpermute_b32 v6, v13, v5
	s_waitcnt lgkmcnt(1)
	v_add_f32_e32 v2, v4, v2
	ds_bpermute_b32 v4, v13, v10
	v_cndmask_b32_e64 v10, -v10, v10, s[0:1]
	v_cndmask_b32_e64 v5, -v5, v5, s[0:1]
	s_waitcnt lgkmcnt(1)
	v_add_f32_e32 v5, v5, v6
	v_cndmask_b32_e64 v6, -v8, v8, s[0:1]
	s_waitcnt lgkmcnt(0)
	v_add_f32_e32 v4, v10, v4
	ds_bpermute_b32 v10, v13, v8
	ds_bpermute_b32 v8, v13, v7
	;; [unrolled: 1-line block ×3, first 2 shown]
	v_cndmask_b32_e64 v7, -v7, v7, s[0:1]
	v_cndmask_b32_e64 v3, -v3, v3, s[0:1]
	s_waitcnt lgkmcnt(2)
	v_add_f32_e32 v6, v6, v10
	ds_bpermute_b32 v10, v13, v9
	ds_bpermute_b32 v13, v13, v11
	s_waitcnt lgkmcnt(3)
	v_add_f32_e32 v8, v7, v8
	v_cndmask_b32_e64 v7, -v9, v9, s[0:1]
	s_waitcnt lgkmcnt(2)
	v_add_f32_e32 v3, v3, v15
	s_waitcnt lgkmcnt(1)
	v_add_f32_e32 v10, v7, v10
	v_cndmask_b32_e64 v7, -v11, v11, s[0:1]
	s_waitcnt lgkmcnt(0)
	v_add_f32_e32 v13, v7, v13
	v_xor_b32_e32 v7, 2, v12
	v_cmp_lt_i32_e64 s[0:1], v7, v14
	v_cndmask_b32_e64 v7, v12, v7, s[0:1]
	v_lshlrev_b32_e32 v17, 2, v7
	ds_bpermute_b32 v7, v17, v2
	ds_bpermute_b32 v9, v17, v3
	;; [unrolled: 1-line block ×8, first 2 shown]
	s_and_saveexec_b64 s[0:1], vcc
	s_cbranch_execz .LBB15_4
; %bb.3:
	s_load_dwordx2 s[0:1], s[4:5], 0x18
	s_load_dwordx2 s[8:9], s[4:5], 0x30
	s_load_dword s3, s[4:5], 0x20
	v_and_b32_e32 v0, 2, v0
	v_cmp_eq_u32_e32 vcc, 0, v0
	s_waitcnt lgkmcnt(0)
	s_mul_i32 s2, s0, s2
	s_mul_hi_u32 s4, s0, s6
	s_mul_i32 s1, s1, s6
	s_add_i32 s2, s4, s2
	s_add_i32 s1, s2, s1
	s_mul_i32 s0, s0, s6
	v_cndmask_b32_e64 v10, -v10, v10, vcc
	v_cndmask_b32_e64 v6, -v6, v6, vcc
	;; [unrolled: 1-line block ×4, first 2 shown]
	s_lshl_b64 s[0:1], s[0:1], 1
	v_cndmask_b32_e64 v0, -v13, v13, vcc
	v_add_f32_e32 v10, v10, v16
	v_cndmask_b32_e64 v8, -v8, v8, vcc
	v_add_f32_e32 v6, v6, v14
	;; [unrolled: 2-line block ×4, first 2 shown]
	s_add_u32 s0, s8, s0
	v_add_f32_e32 v0, v0, v17
	v_add_f32_e32 v8, v8, v15
	v_add_f32_e32 v12, v5, v12
	v_add_f32_e32 v9, v3, v9
	v_fma_mixlo_f16 v5, s3, v10, 0
	v_fma_mixlo_f16 v4, s3, v6, 0
	v_fma_mixlo_f16 v3, s3, v11, 0
	v_fma_mixlo_f16 v2, s3, v2, 0
	s_addc_u32 s1, s9, s1
	v_fma_mixhi_f16 v5, s3, v0, 0
	v_fma_mixhi_f16 v4, s3, v8, 0
	;; [unrolled: 1-line block ×4, first 2 shown]
	global_store_dwordx4 v1, v[2:5], s[0:1]
.LBB15_4:
	s_endpgm
	.section	.rodata,"a",@progbits
	.p2align	6, 0x0
	.amdhsa_kernel _Z30fast_hadamard_transform_kernelI37fast_hadamard_transform_kernel_traitsILi4ELi5E6__halfEEv18HadamardParamsBase
		.amdhsa_group_segment_fixed_size 0
		.amdhsa_private_segment_fixed_size 0
		.amdhsa_kernarg_size 56
		.amdhsa_user_sgpr_count 6
		.amdhsa_user_sgpr_private_segment_buffer 1
		.amdhsa_user_sgpr_dispatch_ptr 0
		.amdhsa_user_sgpr_queue_ptr 0
		.amdhsa_user_sgpr_kernarg_segment_ptr 1
		.amdhsa_user_sgpr_dispatch_id 0
		.amdhsa_user_sgpr_flat_scratch_init 0
		.amdhsa_user_sgpr_private_segment_size 0
		.amdhsa_uses_dynamic_stack 0
		.amdhsa_system_sgpr_private_segment_wavefront_offset 0
		.amdhsa_system_sgpr_workgroup_id_x 1
		.amdhsa_system_sgpr_workgroup_id_y 0
		.amdhsa_system_sgpr_workgroup_id_z 0
		.amdhsa_system_sgpr_workgroup_info 0
		.amdhsa_system_vgpr_workitem_id 0
		.amdhsa_next_free_vgpr 18
		.amdhsa_next_free_sgpr 12
		.amdhsa_reserve_vcc 1
		.amdhsa_reserve_flat_scratch 0
		.amdhsa_float_round_mode_32 0
		.amdhsa_float_round_mode_16_64 0
		.amdhsa_float_denorm_mode_32 3
		.amdhsa_float_denorm_mode_16_64 3
		.amdhsa_dx10_clamp 1
		.amdhsa_ieee_mode 1
		.amdhsa_fp16_overflow 0
		.amdhsa_exception_fp_ieee_invalid_op 0
		.amdhsa_exception_fp_denorm_src 0
		.amdhsa_exception_fp_ieee_div_zero 0
		.amdhsa_exception_fp_ieee_overflow 0
		.amdhsa_exception_fp_ieee_underflow 0
		.amdhsa_exception_fp_ieee_inexact 0
		.amdhsa_exception_int_div_zero 0
	.end_amdhsa_kernel
	.section	.text._Z30fast_hadamard_transform_kernelI37fast_hadamard_transform_kernel_traitsILi4ELi5E6__halfEEv18HadamardParamsBase,"axG",@progbits,_Z30fast_hadamard_transform_kernelI37fast_hadamard_transform_kernel_traitsILi4ELi5E6__halfEEv18HadamardParamsBase,comdat
.Lfunc_end15:
	.size	_Z30fast_hadamard_transform_kernelI37fast_hadamard_transform_kernel_traitsILi4ELi5E6__halfEEv18HadamardParamsBase, .Lfunc_end15-_Z30fast_hadamard_transform_kernelI37fast_hadamard_transform_kernel_traitsILi4ELi5E6__halfEEv18HadamardParamsBase
                                        ; -- End function
	.set _Z30fast_hadamard_transform_kernelI37fast_hadamard_transform_kernel_traitsILi4ELi5E6__halfEEv18HadamardParamsBase.num_vgpr, 18
	.set _Z30fast_hadamard_transform_kernelI37fast_hadamard_transform_kernel_traitsILi4ELi5E6__halfEEv18HadamardParamsBase.num_agpr, 0
	.set _Z30fast_hadamard_transform_kernelI37fast_hadamard_transform_kernel_traitsILi4ELi5E6__halfEEv18HadamardParamsBase.numbered_sgpr, 12
	.set _Z30fast_hadamard_transform_kernelI37fast_hadamard_transform_kernel_traitsILi4ELi5E6__halfEEv18HadamardParamsBase.num_named_barrier, 0
	.set _Z30fast_hadamard_transform_kernelI37fast_hadamard_transform_kernel_traitsILi4ELi5E6__halfEEv18HadamardParamsBase.private_seg_size, 0
	.set _Z30fast_hadamard_transform_kernelI37fast_hadamard_transform_kernel_traitsILi4ELi5E6__halfEEv18HadamardParamsBase.uses_vcc, 1
	.set _Z30fast_hadamard_transform_kernelI37fast_hadamard_transform_kernel_traitsILi4ELi5E6__halfEEv18HadamardParamsBase.uses_flat_scratch, 0
	.set _Z30fast_hadamard_transform_kernelI37fast_hadamard_transform_kernel_traitsILi4ELi5E6__halfEEv18HadamardParamsBase.has_dyn_sized_stack, 0
	.set _Z30fast_hadamard_transform_kernelI37fast_hadamard_transform_kernel_traitsILi4ELi5E6__halfEEv18HadamardParamsBase.has_recursion, 0
	.set _Z30fast_hadamard_transform_kernelI37fast_hadamard_transform_kernel_traitsILi4ELi5E6__halfEEv18HadamardParamsBase.has_indirect_call, 0
	.section	.AMDGPU.csdata,"",@progbits
; Kernel info:
; codeLenInByte = 876
; TotalNumSgprs: 16
; NumVgprs: 18
; ScratchSize: 0
; MemoryBound: 0
; FloatMode: 240
; IeeeMode: 1
; LDSByteSize: 0 bytes/workgroup (compile time only)
; SGPRBlocks: 1
; VGPRBlocks: 4
; NumSGPRsForWavesPerEU: 16
; NumVGPRsForWavesPerEU: 18
; Occupancy: 10
; WaveLimiterHint : 0
; COMPUTE_PGM_RSRC2:SCRATCH_EN: 0
; COMPUTE_PGM_RSRC2:USER_SGPR: 6
; COMPUTE_PGM_RSRC2:TRAP_HANDLER: 0
; COMPUTE_PGM_RSRC2:TGID_X_EN: 1
; COMPUTE_PGM_RSRC2:TGID_Y_EN: 0
; COMPUTE_PGM_RSRC2:TGID_Z_EN: 0
; COMPUTE_PGM_RSRC2:TIDIG_COMP_CNT: 0
	.section	.text._Z30fast_hadamard_transform_kernelI37fast_hadamard_transform_kernel_traitsILi8ELi6E6__halfEEv18HadamardParamsBase,"axG",@progbits,_Z30fast_hadamard_transform_kernelI37fast_hadamard_transform_kernel_traitsILi8ELi6E6__halfEEv18HadamardParamsBase,comdat
	.protected	_Z30fast_hadamard_transform_kernelI37fast_hadamard_transform_kernel_traitsILi8ELi6E6__halfEEv18HadamardParamsBase ; -- Begin function _Z30fast_hadamard_transform_kernelI37fast_hadamard_transform_kernel_traitsILi8ELi6E6__halfEEv18HadamardParamsBase
	.globl	_Z30fast_hadamard_transform_kernelI37fast_hadamard_transform_kernel_traitsILi8ELi6E6__halfEEv18HadamardParamsBase
	.p2align	8
	.type	_Z30fast_hadamard_transform_kernelI37fast_hadamard_transform_kernel_traitsILi8ELi6E6__halfEEv18HadamardParamsBase,@function
_Z30fast_hadamard_transform_kernelI37fast_hadamard_transform_kernel_traitsILi8ELi6E6__halfEEv18HadamardParamsBase: ; @_Z30fast_hadamard_transform_kernelI37fast_hadamard_transform_kernel_traitsILi8ELi6E6__halfEEv18HadamardParamsBase
; %bb.0:
	s_load_dword s0, s[4:5], 0x4
	v_lshlrev_b32_e32 v1, 3, v0
	s_ashr_i32 s2, s6, 31
	v_mov_b32_e32 v2, 0
	v_mov_b32_e32 v3, 0
	s_waitcnt lgkmcnt(0)
	v_cmp_gt_u32_e32 vcc, s0, v1
	v_lshlrev_b32_e32 v1, 4, v0
	v_mov_b32_e32 v4, 0
	v_mov_b32_e32 v5, 0
	v_mov_b32_e32 v6, 0
	v_mov_b32_e32 v7, 0
	v_mov_b32_e32 v8, 0
	v_mov_b32_e32 v9, 0
	s_and_saveexec_b64 s[0:1], vcc
	s_cbranch_execz .LBB16_2
; %bb.1:
	s_load_dwordx2 s[8:9], s[4:5], 0x10
	s_load_dwordx2 s[10:11], s[4:5], 0x28
	s_waitcnt lgkmcnt(0)
	s_mul_i32 s3, s8, s2
	s_mul_hi_u32 s7, s8, s6
	s_mul_i32 s9, s9, s6
	s_add_i32 s3, s7, s3
	s_mul_i32 s8, s8, s6
	s_add_i32 s9, s3, s9
	s_lshl_b64 s[8:9], s[8:9], 1
	s_add_u32 s8, s10, s8
	s_addc_u32 s9, s11, s9
	global_load_dwordx4 v[10:13], v1, s[8:9]
	s_waitcnt vmcnt(0)
	v_cvt_f32_f16_e32 v9, v10
	v_cvt_f32_f16_sdwa v8, v10 dst_sel:DWORD dst_unused:UNUSED_PAD src0_sel:WORD_1
	v_cvt_f32_f16_e32 v7, v11
	v_cvt_f32_f16_sdwa v6, v11 dst_sel:DWORD dst_unused:UNUSED_PAD src0_sel:WORD_1
	;; [unrolled: 2-line block ×4, first 2 shown]
.LBB16_2:
	s_or_b64 exec, exec, s[0:1]
	v_add_f32_e32 v10, v8, v9
	v_sub_f32_e32 v8, v9, v8
	v_add_f32_e32 v9, v6, v7
	v_sub_f32_e32 v6, v7, v6
	;; [unrolled: 2-line block ×12, first 2 shown]
	v_mbcnt_lo_u32_b32 v6, -1, 0
	v_mbcnt_hi_u32_b32 v11, -1, v6
	v_and_b32_e32 v6, 64, v11
	v_add_u32_e32 v12, 64, v6
	v_xor_b32_e32 v6, 1, v11
	v_cmp_lt_i32_e64 s[0:1], v6, v12
	v_cndmask_b32_e64 v6, v11, v6, s[0:1]
	v_lshlrev_b32_e32 v6, 2, v6
	ds_bpermute_b32 v13, v6, v4
	v_and_b32_e32 v14, 1, v0
	v_cmp_eq_u32_e64 s[0:1], 0, v14
	v_cndmask_b32_e64 v4, -v4, v4, s[0:1]
	ds_bpermute_b32 v14, v6, v9
	s_waitcnt lgkmcnt(1)
	v_add_f32_e32 v4, v4, v13
	ds_bpermute_b32 v13, v6, v10
	v_cndmask_b32_e64 v10, -v10, v10, s[0:1]
	v_cndmask_b32_e64 v9, -v9, v9, s[0:1]
	ds_bpermute_b32 v15, v6, v8
	s_waitcnt lgkmcnt(2)
	v_add_f32_e32 v9, v9, v14
	s_waitcnt lgkmcnt(1)
	v_add_f32_e32 v10, v10, v13
	ds_bpermute_b32 v13, v6, v3
	v_cndmask_b32_e64 v3, -v3, v3, s[0:1]
	ds_bpermute_b32 v14, v6, v7
	v_cndmask_b32_e64 v8, -v8, v8, s[0:1]
	s_waitcnt lgkmcnt(2)
	v_add_f32_e32 v8, v8, v15
	s_waitcnt lgkmcnt(1)
	v_add_f32_e32 v13, v3, v13
	ds_bpermute_b32 v3, v6, v5
	ds_bpermute_b32 v6, v6, v2
	v_cndmask_b32_e64 v2, -v2, v2, s[0:1]
	v_cndmask_b32_e64 v7, -v7, v7, s[0:1]
	;; [unrolled: 1-line block ×3, first 2 shown]
	s_waitcnt lgkmcnt(2)
	v_add_f32_e32 v7, v7, v14
	s_waitcnt lgkmcnt(0)
	v_add_f32_e32 v15, v2, v6
	v_xor_b32_e32 v2, 2, v11
	v_cmp_lt_i32_e64 s[0:1], v2, v12
	v_cndmask_b32_e64 v2, v11, v2, s[0:1]
	v_lshlrev_b32_e32 v16, 2, v2
	ds_bpermute_b32 v2, v16, v4
	v_add_f32_e32 v14, v5, v3
	ds_bpermute_b32 v5, v16, v8
	v_and_b32_e32 v3, 2, v0
	v_cmp_eq_u32_e64 s[0:1], 0, v3
	v_cndmask_b32_e64 v3, -v4, v4, s[0:1]
	ds_bpermute_b32 v4, v16, v10
	s_waitcnt lgkmcnt(2)
	v_add_f32_e32 v2, v3, v2
	v_cndmask_b32_e64 v3, -v8, v8, s[0:1]
	s_waitcnt lgkmcnt(1)
	v_add_f32_e32 v3, v3, v5
	ds_bpermute_b32 v5, v16, v9
	v_cndmask_b32_e64 v6, -v10, v10, s[0:1]
	s_waitcnt lgkmcnt(1)
	v_add_f32_e32 v4, v6, v4
	ds_bpermute_b32 v6, v16, v13
	v_cndmask_b32_e64 v8, -v9, v9, s[0:1]
	ds_bpermute_b32 v9, v16, v7
	ds_bpermute_b32 v10, v16, v14
	s_waitcnt lgkmcnt(3)
	v_add_f32_e32 v5, v8, v5
	v_cndmask_b32_e64 v8, -v13, v13, s[0:1]
	ds_bpermute_b32 v13, v16, v15
	v_cndmask_b32_e64 v7, -v7, v7, s[0:1]
	s_waitcnt lgkmcnt(3)
	v_add_f32_e32 v6, v8, v6
	s_waitcnt lgkmcnt(2)
	v_add_f32_e32 v8, v7, v9
	v_cndmask_b32_e64 v7, -v14, v14, s[0:1]
	s_waitcnt lgkmcnt(1)
	v_add_f32_e32 v10, v7, v10
	v_cndmask_b32_e64 v7, -v15, v15, s[0:1]
	s_waitcnt lgkmcnt(0)
	v_add_f32_e32 v13, v7, v13
	v_xor_b32_e32 v7, 4, v11
	v_cmp_lt_i32_e64 s[0:1], v7, v12
	v_cndmask_b32_e64 v7, v11, v7, s[0:1]
	v_lshlrev_b32_e32 v17, 2, v7
	ds_bpermute_b32 v7, v17, v2
	ds_bpermute_b32 v9, v17, v3
	;; [unrolled: 1-line block ×8, first 2 shown]
	s_and_saveexec_b64 s[0:1], vcc
	s_cbranch_execz .LBB16_4
; %bb.3:
	s_load_dwordx2 s[0:1], s[4:5], 0x18
	s_load_dwordx2 s[8:9], s[4:5], 0x30
	s_load_dword s3, s[4:5], 0x20
	v_and_b32_e32 v0, 4, v0
	v_cmp_eq_u32_e32 vcc, 0, v0
	s_waitcnt lgkmcnt(0)
	s_mul_i32 s2, s0, s2
	s_mul_hi_u32 s4, s0, s6
	s_mul_i32 s1, s1, s6
	s_add_i32 s2, s4, s2
	s_add_i32 s1, s2, s1
	s_mul_i32 s0, s0, s6
	v_cndmask_b32_e64 v10, -v10, v10, vcc
	v_cndmask_b32_e64 v6, -v6, v6, vcc
	;; [unrolled: 1-line block ×4, first 2 shown]
	s_lshl_b64 s[0:1], s[0:1], 1
	v_cndmask_b32_e64 v0, -v13, v13, vcc
	v_add_f32_e32 v10, v10, v16
	v_cndmask_b32_e64 v8, -v8, v8, vcc
	v_add_f32_e32 v6, v6, v14
	;; [unrolled: 2-line block ×4, first 2 shown]
	s_add_u32 s0, s8, s0
	v_add_f32_e32 v0, v0, v17
	v_add_f32_e32 v8, v8, v15
	;; [unrolled: 1-line block ×4, first 2 shown]
	v_fma_mixlo_f16 v5, s3, v10, 0
	v_fma_mixlo_f16 v4, s3, v6, 0
	;; [unrolled: 1-line block ×4, first 2 shown]
	s_addc_u32 s1, s9, s1
	v_fma_mixhi_f16 v5, s3, v0, 0
	v_fma_mixhi_f16 v4, s3, v8, 0
	;; [unrolled: 1-line block ×4, first 2 shown]
	global_store_dwordx4 v1, v[2:5], s[0:1]
.LBB16_4:
	s_endpgm
	.section	.rodata,"a",@progbits
	.p2align	6, 0x0
	.amdhsa_kernel _Z30fast_hadamard_transform_kernelI37fast_hadamard_transform_kernel_traitsILi8ELi6E6__halfEEv18HadamardParamsBase
		.amdhsa_group_segment_fixed_size 0
		.amdhsa_private_segment_fixed_size 0
		.amdhsa_kernarg_size 56
		.amdhsa_user_sgpr_count 6
		.amdhsa_user_sgpr_private_segment_buffer 1
		.amdhsa_user_sgpr_dispatch_ptr 0
		.amdhsa_user_sgpr_queue_ptr 0
		.amdhsa_user_sgpr_kernarg_segment_ptr 1
		.amdhsa_user_sgpr_dispatch_id 0
		.amdhsa_user_sgpr_flat_scratch_init 0
		.amdhsa_user_sgpr_private_segment_size 0
		.amdhsa_uses_dynamic_stack 0
		.amdhsa_system_sgpr_private_segment_wavefront_offset 0
		.amdhsa_system_sgpr_workgroup_id_x 1
		.amdhsa_system_sgpr_workgroup_id_y 0
		.amdhsa_system_sgpr_workgroup_id_z 0
		.amdhsa_system_sgpr_workgroup_info 0
		.amdhsa_system_vgpr_workitem_id 0
		.amdhsa_next_free_vgpr 18
		.amdhsa_next_free_sgpr 12
		.amdhsa_reserve_vcc 1
		.amdhsa_reserve_flat_scratch 0
		.amdhsa_float_round_mode_32 0
		.amdhsa_float_round_mode_16_64 0
		.amdhsa_float_denorm_mode_32 3
		.amdhsa_float_denorm_mode_16_64 3
		.amdhsa_dx10_clamp 1
		.amdhsa_ieee_mode 1
		.amdhsa_fp16_overflow 0
		.amdhsa_exception_fp_ieee_invalid_op 0
		.amdhsa_exception_fp_denorm_src 0
		.amdhsa_exception_fp_ieee_div_zero 0
		.amdhsa_exception_fp_ieee_overflow 0
		.amdhsa_exception_fp_ieee_underflow 0
		.amdhsa_exception_fp_ieee_inexact 0
		.amdhsa_exception_int_div_zero 0
	.end_amdhsa_kernel
	.section	.text._Z30fast_hadamard_transform_kernelI37fast_hadamard_transform_kernel_traitsILi8ELi6E6__halfEEv18HadamardParamsBase,"axG",@progbits,_Z30fast_hadamard_transform_kernelI37fast_hadamard_transform_kernel_traitsILi8ELi6E6__halfEEv18HadamardParamsBase,comdat
.Lfunc_end16:
	.size	_Z30fast_hadamard_transform_kernelI37fast_hadamard_transform_kernel_traitsILi8ELi6E6__halfEEv18HadamardParamsBase, .Lfunc_end16-_Z30fast_hadamard_transform_kernelI37fast_hadamard_transform_kernel_traitsILi8ELi6E6__halfEEv18HadamardParamsBase
                                        ; -- End function
	.set _Z30fast_hadamard_transform_kernelI37fast_hadamard_transform_kernel_traitsILi8ELi6E6__halfEEv18HadamardParamsBase.num_vgpr, 18
	.set _Z30fast_hadamard_transform_kernelI37fast_hadamard_transform_kernel_traitsILi8ELi6E6__halfEEv18HadamardParamsBase.num_agpr, 0
	.set _Z30fast_hadamard_transform_kernelI37fast_hadamard_transform_kernel_traitsILi8ELi6E6__halfEEv18HadamardParamsBase.numbered_sgpr, 12
	.set _Z30fast_hadamard_transform_kernelI37fast_hadamard_transform_kernel_traitsILi8ELi6E6__halfEEv18HadamardParamsBase.num_named_barrier, 0
	.set _Z30fast_hadamard_transform_kernelI37fast_hadamard_transform_kernel_traitsILi8ELi6E6__halfEEv18HadamardParamsBase.private_seg_size, 0
	.set _Z30fast_hadamard_transform_kernelI37fast_hadamard_transform_kernel_traitsILi8ELi6E6__halfEEv18HadamardParamsBase.uses_vcc, 1
	.set _Z30fast_hadamard_transform_kernelI37fast_hadamard_transform_kernel_traitsILi8ELi6E6__halfEEv18HadamardParamsBase.uses_flat_scratch, 0
	.set _Z30fast_hadamard_transform_kernelI37fast_hadamard_transform_kernel_traitsILi8ELi6E6__halfEEv18HadamardParamsBase.has_dyn_sized_stack, 0
	.set _Z30fast_hadamard_transform_kernelI37fast_hadamard_transform_kernel_traitsILi8ELi6E6__halfEEv18HadamardParamsBase.has_recursion, 0
	.set _Z30fast_hadamard_transform_kernelI37fast_hadamard_transform_kernel_traitsILi8ELi6E6__halfEEv18HadamardParamsBase.has_indirect_call, 0
	.section	.AMDGPU.csdata,"",@progbits
; Kernel info:
; codeLenInByte = 1100
; TotalNumSgprs: 16
; NumVgprs: 18
; ScratchSize: 0
; MemoryBound: 0
; FloatMode: 240
; IeeeMode: 1
; LDSByteSize: 0 bytes/workgroup (compile time only)
; SGPRBlocks: 1
; VGPRBlocks: 4
; NumSGPRsForWavesPerEU: 16
; NumVGPRsForWavesPerEU: 18
; Occupancy: 10
; WaveLimiterHint : 0
; COMPUTE_PGM_RSRC2:SCRATCH_EN: 0
; COMPUTE_PGM_RSRC2:USER_SGPR: 6
; COMPUTE_PGM_RSRC2:TRAP_HANDLER: 0
; COMPUTE_PGM_RSRC2:TGID_X_EN: 1
; COMPUTE_PGM_RSRC2:TGID_Y_EN: 0
; COMPUTE_PGM_RSRC2:TGID_Z_EN: 0
; COMPUTE_PGM_RSRC2:TIDIG_COMP_CNT: 0
	.section	.text._Z30fast_hadamard_transform_kernelI37fast_hadamard_transform_kernel_traitsILi16ELi7E6__halfEEv18HadamardParamsBase,"axG",@progbits,_Z30fast_hadamard_transform_kernelI37fast_hadamard_transform_kernel_traitsILi16ELi7E6__halfEEv18HadamardParamsBase,comdat
	.protected	_Z30fast_hadamard_transform_kernelI37fast_hadamard_transform_kernel_traitsILi16ELi7E6__halfEEv18HadamardParamsBase ; -- Begin function _Z30fast_hadamard_transform_kernelI37fast_hadamard_transform_kernel_traitsILi16ELi7E6__halfEEv18HadamardParamsBase
	.globl	_Z30fast_hadamard_transform_kernelI37fast_hadamard_transform_kernel_traitsILi16ELi7E6__halfEEv18HadamardParamsBase
	.p2align	8
	.type	_Z30fast_hadamard_transform_kernelI37fast_hadamard_transform_kernel_traitsILi16ELi7E6__halfEEv18HadamardParamsBase,@function
_Z30fast_hadamard_transform_kernelI37fast_hadamard_transform_kernel_traitsILi16ELi7E6__halfEEv18HadamardParamsBase: ; @_Z30fast_hadamard_transform_kernelI37fast_hadamard_transform_kernel_traitsILi16ELi7E6__halfEEv18HadamardParamsBase
; %bb.0:
	s_load_dword s0, s[4:5], 0x4
	v_lshlrev_b32_e32 v1, 3, v0
	s_ashr_i32 s2, s6, 31
	v_mov_b32_e32 v2, 0
	v_mov_b32_e32 v3, 0
	s_waitcnt lgkmcnt(0)
	v_cmp_gt_u32_e32 vcc, s0, v1
	v_lshlrev_b32_e32 v1, 4, v0
	v_mov_b32_e32 v4, 0
	v_mov_b32_e32 v5, 0
	;; [unrolled: 1-line block ×6, first 2 shown]
	s_and_saveexec_b64 s[0:1], vcc
	s_cbranch_execz .LBB17_2
; %bb.1:
	s_load_dwordx2 s[8:9], s[4:5], 0x10
	s_load_dwordx2 s[10:11], s[4:5], 0x28
	s_waitcnt lgkmcnt(0)
	s_mul_i32 s3, s8, s2
	s_mul_hi_u32 s7, s8, s6
	s_mul_i32 s9, s9, s6
	s_add_i32 s3, s7, s3
	s_mul_i32 s8, s8, s6
	s_add_i32 s9, s3, s9
	s_lshl_b64 s[8:9], s[8:9], 1
	s_add_u32 s8, s10, s8
	s_addc_u32 s9, s11, s9
	global_load_dwordx4 v[10:13], v1, s[8:9]
	s_waitcnt vmcnt(0)
	v_cvt_f32_f16_e32 v9, v10
	v_cvt_f32_f16_sdwa v8, v10 dst_sel:DWORD dst_unused:UNUSED_PAD src0_sel:WORD_1
	v_cvt_f32_f16_e32 v7, v11
	v_cvt_f32_f16_sdwa v6, v11 dst_sel:DWORD dst_unused:UNUSED_PAD src0_sel:WORD_1
	;; [unrolled: 2-line block ×4, first 2 shown]
.LBB17_2:
	s_or_b64 exec, exec, s[0:1]
	v_add_f32_e32 v10, v8, v9
	v_sub_f32_e32 v8, v9, v8
	v_add_f32_e32 v9, v6, v7
	v_sub_f32_e32 v6, v7, v6
	;; [unrolled: 2-line block ×12, first 2 shown]
	v_mbcnt_lo_u32_b32 v6, -1, 0
	v_mbcnt_hi_u32_b32 v11, -1, v6
	v_and_b32_e32 v6, 64, v11
	v_add_u32_e32 v12, 64, v6
	v_xor_b32_e32 v6, 1, v11
	v_cmp_lt_i32_e64 s[0:1], v6, v12
	v_cndmask_b32_e64 v6, v11, v6, s[0:1]
	v_lshlrev_b32_e32 v6, 2, v6
	ds_bpermute_b32 v13, v6, v4
	v_and_b32_e32 v14, 1, v0
	v_cmp_eq_u32_e64 s[0:1], 0, v14
	v_cndmask_b32_e64 v4, -v4, v4, s[0:1]
	ds_bpermute_b32 v14, v6, v9
	s_waitcnt lgkmcnt(1)
	v_add_f32_e32 v4, v4, v13
	ds_bpermute_b32 v13, v6, v10
	v_cndmask_b32_e64 v10, -v10, v10, s[0:1]
	v_cndmask_b32_e64 v9, -v9, v9, s[0:1]
	ds_bpermute_b32 v15, v6, v8
	s_waitcnt lgkmcnt(2)
	v_add_f32_e32 v9, v9, v14
	s_waitcnt lgkmcnt(1)
	v_add_f32_e32 v10, v10, v13
	ds_bpermute_b32 v13, v6, v3
	v_cndmask_b32_e64 v3, -v3, v3, s[0:1]
	ds_bpermute_b32 v14, v6, v7
	v_cndmask_b32_e64 v8, -v8, v8, s[0:1]
	v_cndmask_b32_e64 v7, -v7, v7, s[0:1]
	s_waitcnt lgkmcnt(1)
	v_add_f32_e32 v3, v3, v13
	ds_bpermute_b32 v13, v6, v5
	ds_bpermute_b32 v6, v6, v2
	v_cndmask_b32_e64 v2, -v2, v2, s[0:1]
	v_cndmask_b32_e64 v5, -v5, v5, s[0:1]
	s_waitcnt lgkmcnt(2)
	v_add_f32_e32 v7, v7, v14
	s_waitcnt lgkmcnt(1)
	v_add_f32_e32 v5, v5, v13
	;; [unrolled: 2-line block ×3, first 2 shown]
	v_xor_b32_e32 v6, 2, v11
	v_cmp_lt_i32_e64 s[0:1], v6, v12
	v_cndmask_b32_e64 v6, v11, v6, s[0:1]
	v_lshlrev_b32_e32 v6, 2, v6
	ds_bpermute_b32 v13, v6, v4
	v_and_b32_e32 v14, 2, v0
	v_cmp_eq_u32_e64 s[0:1], 0, v14
	v_cndmask_b32_e64 v4, -v4, v4, s[0:1]
	ds_bpermute_b32 v14, v6, v9
	s_waitcnt lgkmcnt(1)
	v_add_f32_e32 v4, v4, v13
	ds_bpermute_b32 v13, v6, v10
	v_cndmask_b32_e64 v10, -v10, v10, s[0:1]
	v_add_f32_e32 v8, v8, v15
	v_cndmask_b32_e64 v9, -v9, v9, s[0:1]
	ds_bpermute_b32 v15, v6, v8
	s_waitcnt lgkmcnt(1)
	v_add_f32_e32 v10, v10, v13
	ds_bpermute_b32 v13, v6, v3
	v_cndmask_b32_e64 v3, -v3, v3, s[0:1]
	v_add_f32_e32 v9, v9, v14
	ds_bpermute_b32 v14, v6, v7
	v_cndmask_b32_e64 v8, -v8, v8, s[0:1]
	s_waitcnt lgkmcnt(1)
	v_add_f32_e32 v13, v3, v13
	ds_bpermute_b32 v3, v6, v5
	ds_bpermute_b32 v6, v6, v2
	v_cndmask_b32_e64 v2, -v2, v2, s[0:1]
	v_add_f32_e32 v8, v8, v15
	v_cndmask_b32_e64 v7, -v7, v7, s[0:1]
	v_cndmask_b32_e64 v5, -v5, v5, s[0:1]
	s_waitcnt lgkmcnt(0)
	v_add_f32_e32 v15, v2, v6
	v_xor_b32_e32 v2, 4, v11
	v_cmp_lt_i32_e64 s[0:1], v2, v12
	v_cndmask_b32_e64 v2, v11, v2, s[0:1]
	v_lshlrev_b32_e32 v16, 2, v2
	ds_bpermute_b32 v2, v16, v4
	v_add_f32_e32 v7, v7, v14
	v_add_f32_e32 v14, v5, v3
	ds_bpermute_b32 v5, v16, v8
	v_and_b32_e32 v3, 4, v0
	v_cmp_eq_u32_e64 s[0:1], 0, v3
	v_cndmask_b32_e64 v3, -v4, v4, s[0:1]
	ds_bpermute_b32 v4, v16, v10
	s_waitcnt lgkmcnt(2)
	v_add_f32_e32 v2, v3, v2
	v_cndmask_b32_e64 v3, -v8, v8, s[0:1]
	s_waitcnt lgkmcnt(1)
	v_add_f32_e32 v3, v3, v5
	ds_bpermute_b32 v5, v16, v9
	v_cndmask_b32_e64 v6, -v10, v10, s[0:1]
	s_waitcnt lgkmcnt(1)
	v_add_f32_e32 v4, v6, v4
	ds_bpermute_b32 v6, v16, v13
	v_cndmask_b32_e64 v8, -v9, v9, s[0:1]
	ds_bpermute_b32 v9, v16, v7
	ds_bpermute_b32 v10, v16, v14
	s_waitcnt lgkmcnt(3)
	v_add_f32_e32 v5, v8, v5
	v_cndmask_b32_e64 v8, -v13, v13, s[0:1]
	ds_bpermute_b32 v13, v16, v15
	v_cndmask_b32_e64 v7, -v7, v7, s[0:1]
	s_waitcnt lgkmcnt(3)
	v_add_f32_e32 v6, v8, v6
	s_waitcnt lgkmcnt(2)
	v_add_f32_e32 v8, v7, v9
	v_cndmask_b32_e64 v7, -v14, v14, s[0:1]
	s_waitcnt lgkmcnt(1)
	v_add_f32_e32 v10, v7, v10
	v_cndmask_b32_e64 v7, -v15, v15, s[0:1]
	s_waitcnt lgkmcnt(0)
	v_add_f32_e32 v13, v7, v13
	v_xor_b32_e32 v7, 8, v11
	v_cmp_lt_i32_e64 s[0:1], v7, v12
	v_cndmask_b32_e64 v7, v11, v7, s[0:1]
	v_lshlrev_b32_e32 v17, 2, v7
	ds_bpermute_b32 v7, v17, v2
	ds_bpermute_b32 v9, v17, v3
	;; [unrolled: 1-line block ×8, first 2 shown]
	s_and_saveexec_b64 s[0:1], vcc
	s_cbranch_execz .LBB17_4
; %bb.3:
	s_load_dwordx2 s[0:1], s[4:5], 0x18
	s_load_dwordx2 s[8:9], s[4:5], 0x30
	s_load_dword s3, s[4:5], 0x20
	v_and_b32_e32 v0, 8, v0
	v_cmp_eq_u32_e32 vcc, 0, v0
	s_waitcnt lgkmcnt(0)
	s_mul_i32 s2, s0, s2
	s_mul_hi_u32 s4, s0, s6
	s_mul_i32 s1, s1, s6
	s_add_i32 s2, s4, s2
	s_add_i32 s1, s2, s1
	s_mul_i32 s0, s0, s6
	v_cndmask_b32_e64 v10, -v10, v10, vcc
	v_cndmask_b32_e64 v6, -v6, v6, vcc
	;; [unrolled: 1-line block ×4, first 2 shown]
	s_lshl_b64 s[0:1], s[0:1], 1
	v_cndmask_b32_e64 v0, -v13, v13, vcc
	v_add_f32_e32 v10, v10, v16
	v_cndmask_b32_e64 v8, -v8, v8, vcc
	v_add_f32_e32 v6, v6, v14
	;; [unrolled: 2-line block ×4, first 2 shown]
	s_add_u32 s0, s8, s0
	v_add_f32_e32 v0, v0, v17
	v_add_f32_e32 v8, v8, v15
	;; [unrolled: 1-line block ×4, first 2 shown]
	v_fma_mixlo_f16 v5, s3, v10, 0
	v_fma_mixlo_f16 v4, s3, v6, 0
	;; [unrolled: 1-line block ×4, first 2 shown]
	s_addc_u32 s1, s9, s1
	v_fma_mixhi_f16 v5, s3, v0, 0
	v_fma_mixhi_f16 v4, s3, v8, 0
	;; [unrolled: 1-line block ×4, first 2 shown]
	global_store_dwordx4 v1, v[2:5], s[0:1]
.LBB17_4:
	s_endpgm
	.section	.rodata,"a",@progbits
	.p2align	6, 0x0
	.amdhsa_kernel _Z30fast_hadamard_transform_kernelI37fast_hadamard_transform_kernel_traitsILi16ELi7E6__halfEEv18HadamardParamsBase
		.amdhsa_group_segment_fixed_size 0
		.amdhsa_private_segment_fixed_size 0
		.amdhsa_kernarg_size 56
		.amdhsa_user_sgpr_count 6
		.amdhsa_user_sgpr_private_segment_buffer 1
		.amdhsa_user_sgpr_dispatch_ptr 0
		.amdhsa_user_sgpr_queue_ptr 0
		.amdhsa_user_sgpr_kernarg_segment_ptr 1
		.amdhsa_user_sgpr_dispatch_id 0
		.amdhsa_user_sgpr_flat_scratch_init 0
		.amdhsa_user_sgpr_private_segment_size 0
		.amdhsa_uses_dynamic_stack 0
		.amdhsa_system_sgpr_private_segment_wavefront_offset 0
		.amdhsa_system_sgpr_workgroup_id_x 1
		.amdhsa_system_sgpr_workgroup_id_y 0
		.amdhsa_system_sgpr_workgroup_id_z 0
		.amdhsa_system_sgpr_workgroup_info 0
		.amdhsa_system_vgpr_workitem_id 0
		.amdhsa_next_free_vgpr 18
		.amdhsa_next_free_sgpr 12
		.amdhsa_reserve_vcc 1
		.amdhsa_reserve_flat_scratch 0
		.amdhsa_float_round_mode_32 0
		.amdhsa_float_round_mode_16_64 0
		.amdhsa_float_denorm_mode_32 3
		.amdhsa_float_denorm_mode_16_64 3
		.amdhsa_dx10_clamp 1
		.amdhsa_ieee_mode 1
		.amdhsa_fp16_overflow 0
		.amdhsa_exception_fp_ieee_invalid_op 0
		.amdhsa_exception_fp_denorm_src 0
		.amdhsa_exception_fp_ieee_div_zero 0
		.amdhsa_exception_fp_ieee_overflow 0
		.amdhsa_exception_fp_ieee_underflow 0
		.amdhsa_exception_fp_ieee_inexact 0
		.amdhsa_exception_int_div_zero 0
	.end_amdhsa_kernel
	.section	.text._Z30fast_hadamard_transform_kernelI37fast_hadamard_transform_kernel_traitsILi16ELi7E6__halfEEv18HadamardParamsBase,"axG",@progbits,_Z30fast_hadamard_transform_kernelI37fast_hadamard_transform_kernel_traitsILi16ELi7E6__halfEEv18HadamardParamsBase,comdat
.Lfunc_end17:
	.size	_Z30fast_hadamard_transform_kernelI37fast_hadamard_transform_kernel_traitsILi16ELi7E6__halfEEv18HadamardParamsBase, .Lfunc_end17-_Z30fast_hadamard_transform_kernelI37fast_hadamard_transform_kernel_traitsILi16ELi7E6__halfEEv18HadamardParamsBase
                                        ; -- End function
	.set _Z30fast_hadamard_transform_kernelI37fast_hadamard_transform_kernel_traitsILi16ELi7E6__halfEEv18HadamardParamsBase.num_vgpr, 18
	.set _Z30fast_hadamard_transform_kernelI37fast_hadamard_transform_kernel_traitsILi16ELi7E6__halfEEv18HadamardParamsBase.num_agpr, 0
	.set _Z30fast_hadamard_transform_kernelI37fast_hadamard_transform_kernel_traitsILi16ELi7E6__halfEEv18HadamardParamsBase.numbered_sgpr, 12
	.set _Z30fast_hadamard_transform_kernelI37fast_hadamard_transform_kernel_traitsILi16ELi7E6__halfEEv18HadamardParamsBase.num_named_barrier, 0
	.set _Z30fast_hadamard_transform_kernelI37fast_hadamard_transform_kernel_traitsILi16ELi7E6__halfEEv18HadamardParamsBase.private_seg_size, 0
	.set _Z30fast_hadamard_transform_kernelI37fast_hadamard_transform_kernel_traitsILi16ELi7E6__halfEEv18HadamardParamsBase.uses_vcc, 1
	.set _Z30fast_hadamard_transform_kernelI37fast_hadamard_transform_kernel_traitsILi16ELi7E6__halfEEv18HadamardParamsBase.uses_flat_scratch, 0
	.set _Z30fast_hadamard_transform_kernelI37fast_hadamard_transform_kernel_traitsILi16ELi7E6__halfEEv18HadamardParamsBase.has_dyn_sized_stack, 0
	.set _Z30fast_hadamard_transform_kernelI37fast_hadamard_transform_kernel_traitsILi16ELi7E6__halfEEv18HadamardParamsBase.has_recursion, 0
	.set _Z30fast_hadamard_transform_kernelI37fast_hadamard_transform_kernel_traitsILi16ELi7E6__halfEEv18HadamardParamsBase.has_indirect_call, 0
	.section	.AMDGPU.csdata,"",@progbits
; Kernel info:
; codeLenInByte = 1312
; TotalNumSgprs: 16
; NumVgprs: 18
; ScratchSize: 0
; MemoryBound: 0
; FloatMode: 240
; IeeeMode: 1
; LDSByteSize: 0 bytes/workgroup (compile time only)
; SGPRBlocks: 1
; VGPRBlocks: 4
; NumSGPRsForWavesPerEU: 16
; NumVGPRsForWavesPerEU: 18
; Occupancy: 10
; WaveLimiterHint : 0
; COMPUTE_PGM_RSRC2:SCRATCH_EN: 0
; COMPUTE_PGM_RSRC2:USER_SGPR: 6
; COMPUTE_PGM_RSRC2:TRAP_HANDLER: 0
; COMPUTE_PGM_RSRC2:TGID_X_EN: 1
; COMPUTE_PGM_RSRC2:TGID_Y_EN: 0
; COMPUTE_PGM_RSRC2:TGID_Z_EN: 0
; COMPUTE_PGM_RSRC2:TIDIG_COMP_CNT: 0
	.section	.text._Z30fast_hadamard_transform_kernelI37fast_hadamard_transform_kernel_traitsILi32ELi8E6__halfEEv18HadamardParamsBase,"axG",@progbits,_Z30fast_hadamard_transform_kernelI37fast_hadamard_transform_kernel_traitsILi32ELi8E6__halfEEv18HadamardParamsBase,comdat
	.protected	_Z30fast_hadamard_transform_kernelI37fast_hadamard_transform_kernel_traitsILi32ELi8E6__halfEEv18HadamardParamsBase ; -- Begin function _Z30fast_hadamard_transform_kernelI37fast_hadamard_transform_kernel_traitsILi32ELi8E6__halfEEv18HadamardParamsBase
	.globl	_Z30fast_hadamard_transform_kernelI37fast_hadamard_transform_kernel_traitsILi32ELi8E6__halfEEv18HadamardParamsBase
	.p2align	8
	.type	_Z30fast_hadamard_transform_kernelI37fast_hadamard_transform_kernel_traitsILi32ELi8E6__halfEEv18HadamardParamsBase,@function
_Z30fast_hadamard_transform_kernelI37fast_hadamard_transform_kernel_traitsILi32ELi8E6__halfEEv18HadamardParamsBase: ; @_Z30fast_hadamard_transform_kernelI37fast_hadamard_transform_kernel_traitsILi32ELi8E6__halfEEv18HadamardParamsBase
; %bb.0:
	s_load_dword s0, s[4:5], 0x4
	v_lshlrev_b32_e32 v1, 3, v0
	s_ashr_i32 s2, s6, 31
	v_mov_b32_e32 v2, 0
	v_mov_b32_e32 v3, 0
	s_waitcnt lgkmcnt(0)
	v_cmp_gt_u32_e32 vcc, s0, v1
	v_lshlrev_b32_e32 v1, 4, v0
	v_mov_b32_e32 v4, 0
	v_mov_b32_e32 v5, 0
	;; [unrolled: 1-line block ×6, first 2 shown]
	s_and_saveexec_b64 s[0:1], vcc
	s_cbranch_execz .LBB18_2
; %bb.1:
	s_load_dwordx2 s[8:9], s[4:5], 0x10
	s_load_dwordx2 s[10:11], s[4:5], 0x28
	s_waitcnt lgkmcnt(0)
	s_mul_i32 s3, s8, s2
	s_mul_hi_u32 s7, s8, s6
	s_mul_i32 s9, s9, s6
	s_add_i32 s3, s7, s3
	s_mul_i32 s8, s8, s6
	s_add_i32 s9, s3, s9
	s_lshl_b64 s[8:9], s[8:9], 1
	s_add_u32 s8, s10, s8
	s_addc_u32 s9, s11, s9
	global_load_dwordx4 v[10:13], v1, s[8:9]
	s_waitcnt vmcnt(0)
	v_cvt_f32_f16_e32 v9, v10
	v_cvt_f32_f16_sdwa v8, v10 dst_sel:DWORD dst_unused:UNUSED_PAD src0_sel:WORD_1
	v_cvt_f32_f16_e32 v7, v11
	v_cvt_f32_f16_sdwa v6, v11 dst_sel:DWORD dst_unused:UNUSED_PAD src0_sel:WORD_1
	;; [unrolled: 2-line block ×4, first 2 shown]
.LBB18_2:
	s_or_b64 exec, exec, s[0:1]
	v_add_f32_e32 v10, v8, v9
	v_sub_f32_e32 v8, v9, v8
	v_add_f32_e32 v9, v6, v7
	v_sub_f32_e32 v6, v7, v6
	;; [unrolled: 2-line block ×12, first 2 shown]
	v_mbcnt_lo_u32_b32 v6, -1, 0
	v_mbcnt_hi_u32_b32 v11, -1, v6
	v_and_b32_e32 v6, 64, v11
	v_add_u32_e32 v12, 64, v6
	v_xor_b32_e32 v6, 1, v11
	v_cmp_lt_i32_e64 s[0:1], v6, v12
	v_cndmask_b32_e64 v6, v11, v6, s[0:1]
	v_lshlrev_b32_e32 v6, 2, v6
	ds_bpermute_b32 v13, v6, v4
	v_and_b32_e32 v14, 1, v0
	v_cmp_eq_u32_e64 s[0:1], 0, v14
	v_cndmask_b32_e64 v4, -v4, v4, s[0:1]
	ds_bpermute_b32 v14, v6, v9
	s_waitcnt lgkmcnt(1)
	v_add_f32_e32 v4, v4, v13
	ds_bpermute_b32 v13, v6, v10
	v_cndmask_b32_e64 v10, -v10, v10, s[0:1]
	v_cndmask_b32_e64 v9, -v9, v9, s[0:1]
	ds_bpermute_b32 v15, v6, v8
	s_waitcnt lgkmcnt(2)
	v_add_f32_e32 v9, v9, v14
	s_waitcnt lgkmcnt(1)
	v_add_f32_e32 v10, v10, v13
	ds_bpermute_b32 v13, v6, v3
	v_cndmask_b32_e64 v3, -v3, v3, s[0:1]
	ds_bpermute_b32 v14, v6, v7
	v_cndmask_b32_e64 v8, -v8, v8, s[0:1]
	v_cndmask_b32_e64 v7, -v7, v7, s[0:1]
	s_waitcnt lgkmcnt(1)
	v_add_f32_e32 v3, v3, v13
	ds_bpermute_b32 v13, v6, v5
	ds_bpermute_b32 v6, v6, v2
	v_cndmask_b32_e64 v2, -v2, v2, s[0:1]
	v_cndmask_b32_e64 v5, -v5, v5, s[0:1]
	s_waitcnt lgkmcnt(2)
	v_add_f32_e32 v7, v7, v14
	s_waitcnt lgkmcnt(1)
	v_add_f32_e32 v5, v5, v13
	;; [unrolled: 2-line block ×3, first 2 shown]
	v_xor_b32_e32 v6, 2, v11
	v_cmp_lt_i32_e64 s[0:1], v6, v12
	v_cndmask_b32_e64 v6, v11, v6, s[0:1]
	v_lshlrev_b32_e32 v6, 2, v6
	ds_bpermute_b32 v13, v6, v4
	v_and_b32_e32 v14, 2, v0
	v_cmp_eq_u32_e64 s[0:1], 0, v14
	v_cndmask_b32_e64 v4, -v4, v4, s[0:1]
	ds_bpermute_b32 v14, v6, v9
	s_waitcnt lgkmcnt(1)
	v_add_f32_e32 v4, v4, v13
	ds_bpermute_b32 v13, v6, v10
	v_cndmask_b32_e64 v10, -v10, v10, s[0:1]
	v_add_f32_e32 v8, v8, v15
	v_cndmask_b32_e64 v9, -v9, v9, s[0:1]
	ds_bpermute_b32 v15, v6, v8
	s_waitcnt lgkmcnt(1)
	v_add_f32_e32 v10, v10, v13
	ds_bpermute_b32 v13, v6, v3
	v_cndmask_b32_e64 v3, -v3, v3, s[0:1]
	v_add_f32_e32 v9, v9, v14
	ds_bpermute_b32 v14, v6, v7
	v_cndmask_b32_e64 v8, -v8, v8, s[0:1]
	s_waitcnt lgkmcnt(1)
	v_add_f32_e32 v3, v3, v13
	ds_bpermute_b32 v13, v6, v5
	ds_bpermute_b32 v6, v6, v2
	v_cndmask_b32_e64 v2, -v2, v2, s[0:1]
	v_cndmask_b32_e64 v7, -v7, v7, s[0:1]
	;; [unrolled: 1-line block ×3, first 2 shown]
	s_waitcnt lgkmcnt(1)
	v_add_f32_e32 v5, v5, v13
	s_waitcnt lgkmcnt(0)
	v_add_f32_e32 v2, v2, v6
	v_xor_b32_e32 v6, 4, v11
	v_cmp_lt_i32_e64 s[0:1], v6, v12
	v_cndmask_b32_e64 v6, v11, v6, s[0:1]
	v_lshlrev_b32_e32 v6, 2, v6
	ds_bpermute_b32 v13, v6, v4
	v_add_f32_e32 v7, v7, v14
	v_and_b32_e32 v14, 4, v0
	v_cmp_eq_u32_e64 s[0:1], 0, v14
	v_cndmask_b32_e64 v4, -v4, v4, s[0:1]
	s_waitcnt lgkmcnt(0)
	v_add_f32_e32 v4, v4, v13
	ds_bpermute_b32 v13, v6, v10
	v_cndmask_b32_e64 v10, -v10, v10, s[0:1]
	ds_bpermute_b32 v14, v6, v9
	v_add_f32_e32 v8, v8, v15
	v_cndmask_b32_e64 v9, -v9, v9, s[0:1]
	s_waitcnt lgkmcnt(1)
	v_add_f32_e32 v10, v10, v13
	ds_bpermute_b32 v13, v6, v3
	v_cndmask_b32_e64 v3, -v3, v3, s[0:1]
	ds_bpermute_b32 v15, v6, v8
	s_waitcnt lgkmcnt(2)
	v_add_f32_e32 v9, v9, v14
	ds_bpermute_b32 v14, v6, v7
	s_waitcnt lgkmcnt(2)
	v_add_f32_e32 v13, v3, v13
	ds_bpermute_b32 v3, v6, v5
	ds_bpermute_b32 v6, v6, v2
	v_cndmask_b32_e64 v8, -v8, v8, s[0:1]
	v_cndmask_b32_e64 v2, -v2, v2, s[0:1]
	s_waitcnt lgkmcnt(3)
	v_add_f32_e32 v8, v8, v15
	v_cndmask_b32_e64 v7, -v7, v7, s[0:1]
	s_waitcnt lgkmcnt(0)
	v_add_f32_e32 v15, v2, v6
	v_xor_b32_e32 v2, 8, v11
	v_cndmask_b32_e64 v5, -v5, v5, s[0:1]
	v_cmp_lt_i32_e64 s[0:1], v2, v12
	v_cndmask_b32_e64 v2, v11, v2, s[0:1]
	v_lshlrev_b32_e32 v16, 2, v2
	ds_bpermute_b32 v2, v16, v4
	v_add_f32_e32 v7, v7, v14
	v_add_f32_e32 v14, v5, v3
	ds_bpermute_b32 v5, v16, v8
	v_and_b32_e32 v3, 8, v0
	v_cmp_eq_u32_e64 s[0:1], 0, v3
	v_cndmask_b32_e64 v3, -v4, v4, s[0:1]
	ds_bpermute_b32 v4, v16, v10
	s_waitcnt lgkmcnt(2)
	v_add_f32_e32 v2, v3, v2
	v_cndmask_b32_e64 v3, -v8, v8, s[0:1]
	s_waitcnt lgkmcnt(1)
	v_add_f32_e32 v3, v3, v5
	ds_bpermute_b32 v5, v16, v9
	v_cndmask_b32_e64 v6, -v10, v10, s[0:1]
	s_waitcnt lgkmcnt(1)
	v_add_f32_e32 v4, v6, v4
	ds_bpermute_b32 v6, v16, v13
	v_cndmask_b32_e64 v8, -v9, v9, s[0:1]
	ds_bpermute_b32 v9, v16, v7
	ds_bpermute_b32 v10, v16, v14
	s_waitcnt lgkmcnt(3)
	v_add_f32_e32 v5, v8, v5
	v_cndmask_b32_e64 v8, -v13, v13, s[0:1]
	ds_bpermute_b32 v13, v16, v15
	v_cndmask_b32_e64 v7, -v7, v7, s[0:1]
	s_waitcnt lgkmcnt(3)
	v_add_f32_e32 v6, v8, v6
	s_waitcnt lgkmcnt(2)
	v_add_f32_e32 v8, v7, v9
	v_cndmask_b32_e64 v7, -v14, v14, s[0:1]
	s_waitcnt lgkmcnt(1)
	v_add_f32_e32 v10, v7, v10
	v_cndmask_b32_e64 v7, -v15, v15, s[0:1]
	s_waitcnt lgkmcnt(0)
	v_add_f32_e32 v13, v7, v13
	v_xor_b32_e32 v7, 16, v11
	v_cmp_lt_i32_e64 s[0:1], v7, v12
	v_cndmask_b32_e64 v7, v11, v7, s[0:1]
	v_lshlrev_b32_e32 v17, 2, v7
	ds_bpermute_b32 v7, v17, v2
	ds_bpermute_b32 v9, v17, v3
	;; [unrolled: 1-line block ×8, first 2 shown]
	s_and_saveexec_b64 s[0:1], vcc
	s_cbranch_execz .LBB18_4
; %bb.3:
	s_load_dwordx2 s[0:1], s[4:5], 0x18
	s_load_dwordx2 s[8:9], s[4:5], 0x30
	s_load_dword s3, s[4:5], 0x20
	v_and_b32_e32 v0, 16, v0
	v_cmp_eq_u32_e32 vcc, 0, v0
	s_waitcnt lgkmcnt(0)
	s_mul_i32 s2, s0, s2
	s_mul_hi_u32 s4, s0, s6
	s_mul_i32 s1, s1, s6
	s_add_i32 s2, s4, s2
	s_add_i32 s1, s2, s1
	s_mul_i32 s0, s0, s6
	v_cndmask_b32_e64 v10, -v10, v10, vcc
	v_cndmask_b32_e64 v6, -v6, v6, vcc
	;; [unrolled: 1-line block ×4, first 2 shown]
	s_lshl_b64 s[0:1], s[0:1], 1
	v_cndmask_b32_e64 v0, -v13, v13, vcc
	v_add_f32_e32 v10, v10, v16
	v_cndmask_b32_e64 v8, -v8, v8, vcc
	v_add_f32_e32 v6, v6, v14
	;; [unrolled: 2-line block ×4, first 2 shown]
	s_add_u32 s0, s8, s0
	v_add_f32_e32 v0, v0, v17
	v_add_f32_e32 v8, v8, v15
	;; [unrolled: 1-line block ×4, first 2 shown]
	v_fma_mixlo_f16 v5, s3, v10, 0
	v_fma_mixlo_f16 v4, s3, v6, 0
	;; [unrolled: 1-line block ×4, first 2 shown]
	s_addc_u32 s1, s9, s1
	v_fma_mixhi_f16 v5, s3, v0, 0
	v_fma_mixhi_f16 v4, s3, v8, 0
	;; [unrolled: 1-line block ×4, first 2 shown]
	global_store_dwordx4 v1, v[2:5], s[0:1]
.LBB18_4:
	s_endpgm
	.section	.rodata,"a",@progbits
	.p2align	6, 0x0
	.amdhsa_kernel _Z30fast_hadamard_transform_kernelI37fast_hadamard_transform_kernel_traitsILi32ELi8E6__halfEEv18HadamardParamsBase
		.amdhsa_group_segment_fixed_size 0
		.amdhsa_private_segment_fixed_size 0
		.amdhsa_kernarg_size 56
		.amdhsa_user_sgpr_count 6
		.amdhsa_user_sgpr_private_segment_buffer 1
		.amdhsa_user_sgpr_dispatch_ptr 0
		.amdhsa_user_sgpr_queue_ptr 0
		.amdhsa_user_sgpr_kernarg_segment_ptr 1
		.amdhsa_user_sgpr_dispatch_id 0
		.amdhsa_user_sgpr_flat_scratch_init 0
		.amdhsa_user_sgpr_private_segment_size 0
		.amdhsa_uses_dynamic_stack 0
		.amdhsa_system_sgpr_private_segment_wavefront_offset 0
		.amdhsa_system_sgpr_workgroup_id_x 1
		.amdhsa_system_sgpr_workgroup_id_y 0
		.amdhsa_system_sgpr_workgroup_id_z 0
		.amdhsa_system_sgpr_workgroup_info 0
		.amdhsa_system_vgpr_workitem_id 0
		.amdhsa_next_free_vgpr 18
		.amdhsa_next_free_sgpr 12
		.amdhsa_reserve_vcc 1
		.amdhsa_reserve_flat_scratch 0
		.amdhsa_float_round_mode_32 0
		.amdhsa_float_round_mode_16_64 0
		.amdhsa_float_denorm_mode_32 3
		.amdhsa_float_denorm_mode_16_64 3
		.amdhsa_dx10_clamp 1
		.amdhsa_ieee_mode 1
		.amdhsa_fp16_overflow 0
		.amdhsa_exception_fp_ieee_invalid_op 0
		.amdhsa_exception_fp_denorm_src 0
		.amdhsa_exception_fp_ieee_div_zero 0
		.amdhsa_exception_fp_ieee_overflow 0
		.amdhsa_exception_fp_ieee_underflow 0
		.amdhsa_exception_fp_ieee_inexact 0
		.amdhsa_exception_int_div_zero 0
	.end_amdhsa_kernel
	.section	.text._Z30fast_hadamard_transform_kernelI37fast_hadamard_transform_kernel_traitsILi32ELi8E6__halfEEv18HadamardParamsBase,"axG",@progbits,_Z30fast_hadamard_transform_kernelI37fast_hadamard_transform_kernel_traitsILi32ELi8E6__halfEEv18HadamardParamsBase,comdat
.Lfunc_end18:
	.size	_Z30fast_hadamard_transform_kernelI37fast_hadamard_transform_kernel_traitsILi32ELi8E6__halfEEv18HadamardParamsBase, .Lfunc_end18-_Z30fast_hadamard_transform_kernelI37fast_hadamard_transform_kernel_traitsILi32ELi8E6__halfEEv18HadamardParamsBase
                                        ; -- End function
	.set _Z30fast_hadamard_transform_kernelI37fast_hadamard_transform_kernel_traitsILi32ELi8E6__halfEEv18HadamardParamsBase.num_vgpr, 18
	.set _Z30fast_hadamard_transform_kernelI37fast_hadamard_transform_kernel_traitsILi32ELi8E6__halfEEv18HadamardParamsBase.num_agpr, 0
	.set _Z30fast_hadamard_transform_kernelI37fast_hadamard_transform_kernel_traitsILi32ELi8E6__halfEEv18HadamardParamsBase.numbered_sgpr, 12
	.set _Z30fast_hadamard_transform_kernelI37fast_hadamard_transform_kernel_traitsILi32ELi8E6__halfEEv18HadamardParamsBase.num_named_barrier, 0
	.set _Z30fast_hadamard_transform_kernelI37fast_hadamard_transform_kernel_traitsILi32ELi8E6__halfEEv18HadamardParamsBase.private_seg_size, 0
	.set _Z30fast_hadamard_transform_kernelI37fast_hadamard_transform_kernel_traitsILi32ELi8E6__halfEEv18HadamardParamsBase.uses_vcc, 1
	.set _Z30fast_hadamard_transform_kernelI37fast_hadamard_transform_kernel_traitsILi32ELi8E6__halfEEv18HadamardParamsBase.uses_flat_scratch, 0
	.set _Z30fast_hadamard_transform_kernelI37fast_hadamard_transform_kernel_traitsILi32ELi8E6__halfEEv18HadamardParamsBase.has_dyn_sized_stack, 0
	.set _Z30fast_hadamard_transform_kernelI37fast_hadamard_transform_kernel_traitsILi32ELi8E6__halfEEv18HadamardParamsBase.has_recursion, 0
	.set _Z30fast_hadamard_transform_kernelI37fast_hadamard_transform_kernel_traitsILi32ELi8E6__halfEEv18HadamardParamsBase.has_indirect_call, 0
	.section	.AMDGPU.csdata,"",@progbits
; Kernel info:
; codeLenInByte = 1536
; TotalNumSgprs: 16
; NumVgprs: 18
; ScratchSize: 0
; MemoryBound: 0
; FloatMode: 240
; IeeeMode: 1
; LDSByteSize: 0 bytes/workgroup (compile time only)
; SGPRBlocks: 1
; VGPRBlocks: 4
; NumSGPRsForWavesPerEU: 16
; NumVGPRsForWavesPerEU: 18
; Occupancy: 10
; WaveLimiterHint : 0
; COMPUTE_PGM_RSRC2:SCRATCH_EN: 0
; COMPUTE_PGM_RSRC2:USER_SGPR: 6
; COMPUTE_PGM_RSRC2:TRAP_HANDLER: 0
; COMPUTE_PGM_RSRC2:TGID_X_EN: 1
; COMPUTE_PGM_RSRC2:TGID_Y_EN: 0
; COMPUTE_PGM_RSRC2:TGID_Z_EN: 0
; COMPUTE_PGM_RSRC2:TIDIG_COMP_CNT: 0
	.section	.text._Z30fast_hadamard_transform_kernelI37fast_hadamard_transform_kernel_traitsILi32ELi9E6__halfEEv18HadamardParamsBase,"axG",@progbits,_Z30fast_hadamard_transform_kernelI37fast_hadamard_transform_kernel_traitsILi32ELi9E6__halfEEv18HadamardParamsBase,comdat
	.protected	_Z30fast_hadamard_transform_kernelI37fast_hadamard_transform_kernel_traitsILi32ELi9E6__halfEEv18HadamardParamsBase ; -- Begin function _Z30fast_hadamard_transform_kernelI37fast_hadamard_transform_kernel_traitsILi32ELi9E6__halfEEv18HadamardParamsBase
	.globl	_Z30fast_hadamard_transform_kernelI37fast_hadamard_transform_kernel_traitsILi32ELi9E6__halfEEv18HadamardParamsBase
	.p2align	8
	.type	_Z30fast_hadamard_transform_kernelI37fast_hadamard_transform_kernel_traitsILi32ELi9E6__halfEEv18HadamardParamsBase,@function
_Z30fast_hadamard_transform_kernelI37fast_hadamard_transform_kernel_traitsILi32ELi9E6__halfEEv18HadamardParamsBase: ; @_Z30fast_hadamard_transform_kernelI37fast_hadamard_transform_kernel_traitsILi32ELi9E6__halfEEv18HadamardParamsBase
; %bb.0:
	s_load_dwordx4 s[16:19], s[4:5], 0x10
	s_load_dword s8, s[4:5], 0x4
	s_load_dwordx4 s[12:15], s[4:5], 0x28
	s_ashr_i32 s7, s6, 31
	s_load_dword s9, s[4:5], 0x44
	s_waitcnt lgkmcnt(0)
	s_mul_hi_u32 s0, s16, s6
	s_mul_i32 s1, s16, s7
	s_add_i32 s0, s0, s1
	s_mul_i32 s1, s17, s6
	s_add_i32 s1, s0, s1
	s_mul_i32 s0, s16, s6
	s_lshl_b64 s[0:1], s[0:1], 1
	s_add_u32 s2, s12, s0
	v_lshlrev_b32_e32 v1, 3, v0
	s_addc_u32 s3, s13, s1
	v_cmp_gt_u32_e32 vcc, s8, v1
	v_mov_b32_e32 v3, 0
	v_lshlrev_b32_e32 v1, 4, v0
	v_mov_b32_e32 v4, 0
	v_mov_b32_e32 v5, 0
	v_mov_b32_e32 v6, 0
	v_mov_b32_e32 v7, 0
	v_mov_b32_e32 v8, 0
	v_mov_b32_e32 v9, 0
	v_mov_b32_e32 v10, 0
	v_mov_b32_e32 v11, 0
	s_and_saveexec_b64 s[0:1], vcc
	s_cbranch_execz .LBB19_2
; %bb.1:
	global_load_dwordx4 v[12:15], v1, s[2:3]
	s_waitcnt vmcnt(0)
	v_cvt_f32_f16_e32 v11, v12
	v_cvt_f32_f16_sdwa v10, v12 dst_sel:DWORD dst_unused:UNUSED_PAD src0_sel:WORD_1
	v_cvt_f32_f16_e32 v9, v13
	v_cvt_f32_f16_sdwa v8, v13 dst_sel:DWORD dst_unused:UNUSED_PAD src0_sel:WORD_1
	;; [unrolled: 2-line block ×4, first 2 shown]
.LBB19_2:
	s_or_b64 exec, exec, s[0:1]
	s_and_b32 s0, 0xffff, s9
	v_add_u32_e32 v2, s0, v0
	v_lshlrev_b32_e32 v12, 3, v2
	v_cmp_gt_u32_e64 s[0:1], s8, v12
	v_lshlrev_b32_e32 v2, 4, v2
	v_mov_b32_e32 v12, 0
	v_mov_b32_e32 v13, 0
	;; [unrolled: 1-line block ×7, first 2 shown]
	s_and_saveexec_b64 s[8:9], s[0:1]
	s_cbranch_execz .LBB19_4
; %bb.3:
	global_load_dwordx4 v[19:22], v2, s[2:3]
	s_waitcnt vmcnt(0)
	v_cvt_f32_f16_e32 v18, v19
	v_cvt_f32_f16_sdwa v17, v19 dst_sel:DWORD dst_unused:UNUSED_PAD src0_sel:WORD_1
	v_cvt_f32_f16_e32 v16, v20
	v_cvt_f32_f16_sdwa v15, v20 dst_sel:DWORD dst_unused:UNUSED_PAD src0_sel:WORD_1
	;; [unrolled: 2-line block ×4, first 2 shown]
.LBB19_4:
	s_or_b64 exec, exec, s[8:9]
	v_add_f32_e32 v19, v10, v11
	v_sub_f32_e32 v10, v11, v10
	v_add_f32_e32 v11, v17, v18
	v_sub_f32_e32 v17, v18, v17
	;; [unrolled: 2-line block ×24, first 2 shown]
	v_mbcnt_lo_u32_b32 v15, -1, 0
	v_mbcnt_hi_u32_b32 v15, -1, v15
	v_and_b32_e32 v20, 64, v15
	v_add_u32_e32 v20, 64, v20
	v_xor_b32_e32 v21, 1, v15
	v_cmp_lt_i32_e64 s[2:3], v21, v20
	v_cndmask_b32_e64 v21, v15, v21, s[2:3]
	v_lshlrev_b32_e32 v21, 2, v21
	ds_bpermute_b32 v22, v21, v13
	v_and_b32_e32 v23, 1, v0
	v_cmp_eq_u32_e64 s[2:3], 0, v23
	v_cndmask_b32_e64 v13, -v13, v13, s[2:3]
	ds_bpermute_b32 v23, v21, v9
	s_waitcnt lgkmcnt(1)
	v_add_f32_e32 v13, v13, v22
	ds_bpermute_b32 v22, v21, v10
	v_cndmask_b32_e64 v10, -v10, v10, s[2:3]
	v_cndmask_b32_e64 v9, -v9, v9, s[2:3]
	s_waitcnt lgkmcnt(1)
	v_add_f32_e32 v9, v9, v23
	ds_bpermute_b32 v23, v21, v7
	s_waitcnt lgkmcnt(1)
	v_add_f32_e32 v10, v10, v22
	ds_bpermute_b32 v22, v21, v12
	v_cndmask_b32_e64 v12, -v12, v12, s[2:3]
	v_cndmask_b32_e64 v7, -v7, v7, s[2:3]
	ds_bpermute_b32 v24, v21, v19
	s_waitcnt lgkmcnt(2)
	v_add_f32_e32 v23, v7, v23
	s_waitcnt lgkmcnt(1)
	v_add_f32_e32 v12, v12, v22
	ds_bpermute_b32 v22, v21, v14
	ds_bpermute_b32 v7, v21, v4
	v_cndmask_b32_e64 v19, -v19, v19, s[2:3]
	v_cndmask_b32_e64 v14, -v14, v14, s[2:3]
	;; [unrolled: 1-line block ×3, first 2 shown]
	s_waitcnt lgkmcnt(2)
	v_add_f32_e32 v19, v19, v24
	s_waitcnt lgkmcnt(1)
	v_add_f32_e32 v14, v14, v22
	ds_bpermute_b32 v22, v21, v17
	s_waitcnt lgkmcnt(1)
	v_add_f32_e32 v24, v4, v7
	v_cndmask_b32_e64 v7, -v17, v17, s[2:3]
	ds_bpermute_b32 v17, v21, v18
	ds_bpermute_b32 v4, v21, v11
	v_cndmask_b32_e64 v18, -v18, v18, s[2:3]
	s_waitcnt lgkmcnt(2)
	v_add_f32_e32 v7, v7, v22
	v_cndmask_b32_e64 v11, -v11, v11, s[2:3]
	s_waitcnt lgkmcnt(1)
	v_add_f32_e32 v17, v18, v17
	ds_bpermute_b32 v18, v21, v16
	ds_bpermute_b32 v22, v21, v5
	s_waitcnt lgkmcnt(2)
	v_add_f32_e32 v4, v11, v4
	ds_bpermute_b32 v11, v21, v8
	v_cndmask_b32_e64 v16, -v16, v16, s[2:3]
	v_cndmask_b32_e64 v5, -v5, v5, s[2:3]
	;; [unrolled: 1-line block ×3, first 2 shown]
	s_waitcnt lgkmcnt(2)
	v_add_f32_e32 v16, v16, v18
	s_waitcnt lgkmcnt(1)
	v_add_f32_e32 v18, v5, v22
	v_xor_b32_e32 v5, 2, v15
	s_waitcnt lgkmcnt(0)
	v_add_f32_e32 v8, v8, v11
	ds_bpermute_b32 v11, v21, v6
	v_cmp_lt_i32_e64 s[8:9], v5, v20
	v_cndmask_b32_e64 v5, v15, v5, s[8:9]
	v_lshlrev_b32_e32 v22, 2, v5
	ds_bpermute_b32 v5, v22, v13
	v_cndmask_b32_e64 v6, -v6, v6, s[2:3]
	s_waitcnt lgkmcnt(1)
	v_add_f32_e32 v11, v6, v11
	ds_bpermute_b32 v6, v21, v3
	v_and_b32_e32 v21, 2, v0
	v_cmp_eq_u32_e64 s[12:13], 0, v21
	v_cndmask_b32_e64 v13, -v13, v13, s[12:13]
	s_waitcnt lgkmcnt(1)
	v_add_f32_e32 v5, v13, v5
	v_xor_b32_e32 v13, 4, v15
	v_cmp_lt_i32_e64 s[8:9], v13, v20
	v_cndmask_b32_e64 v13, v15, v13, s[8:9]
	v_lshlrev_b32_e32 v13, 2, v13
	ds_bpermute_b32 v21, v13, v5
	v_and_b32_e32 v25, 4, v0
	v_cmp_eq_u32_e64 s[8:9], 0, v25
	v_cndmask_b32_e64 v5, -v5, v5, s[8:9]
	v_cndmask_b32_e64 v3, -v3, v3, s[2:3]
	s_waitcnt lgkmcnt(0)
	v_add_f32_e32 v5, v5, v21
	v_xor_b32_e32 v21, 8, v15
	v_cmp_lt_i32_e64 s[2:3], v21, v20
	v_cndmask_b32_e64 v21, v15, v21, s[2:3]
	v_lshlrev_b32_e32 v21, 2, v21
	ds_bpermute_b32 v25, v21, v5
	v_add_f32_e32 v26, v3, v6
	v_and_b32_e32 v3, 8, v0
	v_cmp_eq_u32_e64 s[2:3], 0, v3
	ds_bpermute_b32 v6, v22, v9
	v_cndmask_b32_e64 v3, -v5, v5, s[2:3]
	s_waitcnt lgkmcnt(1)
	v_add_f32_e32 v5, v3, v25
	v_xor_b32_e32 v3, 16, v15
	v_cmp_lt_i32_e64 s[10:11], v3, v20
	v_cndmask_b32_e64 v3, v15, v3, s[10:11]
	ds_bpermute_b32 v15, v22, v10
	v_cndmask_b32_e64 v9, -v9, v9, s[12:13]
	s_waitcnt lgkmcnt(1)
	v_add_f32_e32 v6, v9, v6
	ds_bpermute_b32 v9, v22, v19
	v_cndmask_b32_e64 v10, -v10, v10, s[12:13]
	s_waitcnt lgkmcnt(1)
	v_add_f32_e32 v10, v10, v15
	ds_bpermute_b32 v15, v22, v8
	v_cndmask_b32_e64 v19, -v19, v19, s[12:13]
	s_waitcnt lgkmcnt(1)
	v_add_f32_e32 v9, v19, v9
	ds_bpermute_b32 v19, v22, v17
	v_cndmask_b32_e64 v8, -v8, v8, s[12:13]
	s_waitcnt lgkmcnt(1)
	v_add_f32_e32 v8, v8, v15
	ds_bpermute_b32 v15, v22, v4
	v_cndmask_b32_e64 v17, -v17, v17, s[12:13]
	s_waitcnt lgkmcnt(1)
	v_add_f32_e32 v17, v17, v19
	ds_bpermute_b32 v19, v22, v7
	v_cndmask_b32_e64 v4, -v4, v4, s[12:13]
	s_waitcnt lgkmcnt(1)
	v_add_f32_e32 v4, v4, v15
	ds_bpermute_b32 v15, v13, v6
	v_cndmask_b32_e64 v7, -v7, v7, s[12:13]
	s_waitcnt lgkmcnt(1)
	v_add_f32_e32 v7, v7, v19
	ds_bpermute_b32 v19, v13, v10
	v_cndmask_b32_e64 v6, -v6, v6, s[8:9]
	s_waitcnt lgkmcnt(1)
	v_add_f32_e32 v6, v6, v15
	ds_bpermute_b32 v15, v13, v9
	v_cndmask_b32_e64 v10, -v10, v10, s[8:9]
	s_waitcnt lgkmcnt(1)
	v_add_f32_e32 v10, v10, v19
	ds_bpermute_b32 v19, v13, v8
	v_cndmask_b32_e64 v9, -v9, v9, s[8:9]
	s_waitcnt lgkmcnt(1)
	v_add_f32_e32 v9, v9, v15
	ds_bpermute_b32 v15, v13, v17
	v_cndmask_b32_e64 v8, -v8, v8, s[8:9]
	s_waitcnt lgkmcnt(1)
	v_add_f32_e32 v8, v8, v19
	ds_bpermute_b32 v19, v13, v4
	v_cndmask_b32_e64 v17, -v17, v17, s[8:9]
	s_waitcnt lgkmcnt(1)
	v_add_f32_e32 v15, v17, v15
	ds_bpermute_b32 v17, v13, v7
	v_cndmask_b32_e64 v4, -v4, v4, s[8:9]
	s_waitcnt lgkmcnt(1)
	v_add_f32_e32 v4, v4, v19
	ds_bpermute_b32 v19, v21, v6
	v_cndmask_b32_e64 v7, -v7, v7, s[8:9]
	s_waitcnt lgkmcnt(1)
	v_add_f32_e32 v7, v7, v17
	ds_bpermute_b32 v17, v21, v10
	v_cndmask_b32_e64 v6, -v6, v6, s[2:3]
	s_waitcnt lgkmcnt(1)
	v_add_f32_e32 v6, v6, v19
	ds_bpermute_b32 v19, v21, v9
	v_cndmask_b32_e64 v10, -v10, v10, s[2:3]
	s_waitcnt lgkmcnt(1)
	v_add_f32_e32 v10, v10, v17
	ds_bpermute_b32 v17, v21, v8
	v_cndmask_b32_e64 v9, -v9, v9, s[2:3]
	s_waitcnt lgkmcnt(1)
	v_add_f32_e32 v9, v9, v19
	ds_bpermute_b32 v19, v21, v15
	v_cndmask_b32_e64 v8, -v8, v8, s[2:3]
	s_waitcnt lgkmcnt(1)
	v_add_f32_e32 v8, v8, v17
	ds_bpermute_b32 v17, v21, v4
	v_cndmask_b32_e64 v15, -v15, v15, s[2:3]
	s_waitcnt lgkmcnt(1)
	v_add_f32_e32 v15, v15, v19
	ds_bpermute_b32 v19, v21, v7
	v_cndmask_b32_e64 v4, -v4, v4, s[2:3]
	v_lshlrev_b32_e32 v20, 2, v3
	v_and_b32_e32 v0, 16, v0
	s_waitcnt lgkmcnt(1)
	v_add_f32_e32 v17, v4, v17
	v_cndmask_b32_e64 v4, -v7, v7, s[2:3]
	ds_bpermute_b32 v3, v20, v6
	s_waitcnt lgkmcnt(1)
	v_add_f32_e32 v19, v4, v19
	ds_bpermute_b32 v4, v20, v10
	v_cmp_eq_u32_e64 s[10:11], 0, v0
	ds_bpermute_b32 v7, v20, v5
	v_cndmask_b32_e64 v0, -v6, v6, s[10:11]
	ds_bpermute_b32 v6, v20, v9
	s_waitcnt lgkmcnt(3)
	v_add_f32_e32 v0, v0, v3
	v_cndmask_b32_e64 v3, -v10, v10, s[10:11]
	v_cndmask_b32_e64 v5, -v5, v5, s[10:11]
	s_waitcnt lgkmcnt(2)
	v_add_f32_e32 v3, v3, v4
	v_cndmask_b32_e64 v4, -v9, v9, s[10:11]
	s_waitcnt lgkmcnt(1)
	v_add_f32_e32 v5, v5, v7
	ds_bpermute_b32 v7, v20, v15
	s_waitcnt lgkmcnt(1)
	v_add_f32_e32 v4, v4, v6
	ds_bpermute_b32 v6, v20, v8
	v_cndmask_b32_e64 v9, -v15, v15, s[10:11]
	v_cndmask_b32_e64 v8, -v8, v8, s[10:11]
	s_waitcnt lgkmcnt(1)
	v_add_f32_e32 v7, v9, v7
	ds_bpermute_b32 v9, v20, v19
	s_waitcnt lgkmcnt(1)
	v_add_f32_e32 v6, v8, v6
	ds_bpermute_b32 v8, v20, v17
	v_cndmask_b32_e64 v15, -v19, v19, s[10:11]
	;; [unrolled: 8-line block ×5, first 2 shown]
	v_cndmask_b32_e64 v23, -v26, v26, s[12:13]
	s_waitcnt lgkmcnt(1)
	v_add_f32_e32 v15, v18, v15
	ds_bpermute_b32 v18, v22, v16
	s_waitcnt lgkmcnt(1)
	v_add_f32_e32 v19, v23, v19
	ds_bpermute_b32 v23, v22, v11
	ds_bpermute_b32 v22, v13, v10
	v_cndmask_b32_e64 v16, -v16, v16, s[12:13]
	s_waitcnt lgkmcnt(2)
	v_add_f32_e32 v16, v16, v18
	ds_bpermute_b32 v18, v13, v14
	v_cndmask_b32_e64 v10, -v10, v10, s[8:9]
	s_waitcnt lgkmcnt(1)
	v_add_f32_e32 v10, v10, v22
	;; [unrolled: 4-line block ×4, first 2 shown]
	ds_bpermute_b32 v22, v13, v19
	v_cndmask_b32_e64 v11, -v11, v11, s[12:13]
	v_cndmask_b32_e64 v12, -v12, v12, s[8:9]
	v_add_f32_e32 v11, v11, v23
	s_waitcnt lgkmcnt(1)
	v_add_f32_e32 v12, v12, v18
	ds_bpermute_b32 v18, v13, v15
	v_cndmask_b32_e64 v19, -v19, v19, s[8:9]
	s_waitcnt lgkmcnt(1)
	v_add_f32_e32 v19, v19, v22
	ds_bpermute_b32 v22, v13, v11
	ds_bpermute_b32 v13, v13, v16
	v_cndmask_b32_e64 v15, -v15, v15, s[8:9]
	s_waitcnt lgkmcnt(2)
	v_add_f32_e32 v15, v15, v18
	ds_bpermute_b32 v18, v21, v10
	v_cndmask_b32_e64 v16, -v16, v16, s[8:9]
	s_waitcnt lgkmcnt(1)
	v_add_f32_e32 v13, v16, v13
	;; [unrolled: 4-line block ×6, first 2 shown]
	ds_bpermute_b32 v12, v21, v15
	v_cndmask_b32_e64 v11, -v11, v11, s[8:9]
	v_add_f32_e32 v11, v11, v22
	v_cndmask_b32_e64 v19, -v19, v19, s[2:3]
	s_waitcnt lgkmcnt(1)
	v_add_f32_e32 v18, v19, v18
	ds_bpermute_b32 v19, v21, v11
	v_cndmask_b32_e64 v15, -v15, v15, s[2:3]
	s_waitcnt lgkmcnt(1)
	v_add_f32_e32 v15, v15, v12
	ds_bpermute_b32 v12, v21, v13
	;; [unrolled: 4-line block ×4, first 2 shown]
	v_cndmask_b32_e64 v10, -v10, v10, s[10:11]
	ds_bpermute_b32 v13, v20, v17
	s_waitcnt lgkmcnt(2)
	v_add_f32_e32 v10, v10, v11
	v_cndmask_b32_e64 v11, -v14, v14, s[10:11]
	ds_bpermute_b32 v14, v20, v16
	s_waitcnt lgkmcnt(2)
	v_add_f32_e32 v11, v11, v12
	;; [unrolled: 4-line block ×3, first 2 shown]
	v_cndmask_b32_e64 v13, -v16, v16, s[10:11]
	s_waitcnt lgkmcnt(1)
	v_add_f32_e32 v13, v13, v14
	v_cndmask_b32_e64 v14, -v18, v18, s[10:11]
	ds_bpermute_b32 v16, v20, v15
	s_waitcnt lgkmcnt(1)
	v_add_f32_e32 v14, v14, v17
	ds_bpermute_b32 v17, v20, v19
	ds_bpermute_b32 v18, v20, v21
	s_mul_i32 s2, s18, s7
	s_mul_hi_u32 s3, s18, s6
	s_load_dword s8, s[4:5], 0x20
	s_add_i32 s2, s3, s2
	s_mul_i32 s3, s19, s6
	v_cndmask_b32_e64 v15, -v15, v15, s[10:11]
	s_add_i32 s3, s2, s3
	s_mul_i32 s2, s18, s6
	s_waitcnt lgkmcnt(0)
	v_add_f32_e32 v15, v15, v16
	v_cndmask_b32_e64 v16, -v19, v19, s[10:11]
	s_lshl_b64 s[2:3], s[2:3], 1
	v_add_f32_e32 v17, v16, v17
	v_cndmask_b32_e64 v16, -v21, v21, s[10:11]
	s_add_u32 s2, s14, s2
	v_add_f32_e32 v16, v16, v18
	s_addc_u32 s3, s15, s3
	s_and_saveexec_b64 s[4:5], vcc
	s_cbranch_execnz .LBB19_7
; %bb.5:
	s_or_b64 exec, exec, s[4:5]
	s_and_saveexec_b64 s[4:5], s[0:1]
	s_cbranch_execnz .LBB19_8
.LBB19_6:
	s_endpgm
.LBB19_7:
	v_add_f32_e32 v18, v11, v15
	v_add_f32_e32 v19, v13, v16
	v_fma_mixlo_f16 v21, s8, v18, 0
	v_add_f32_e32 v18, v3, v7
	v_add_f32_e32 v22, v10, v14
	v_fma_mixlo_f16 v20, s8, v19, 0
	v_fma_mixlo_f16 v19, s8, v18, 0
	v_add_f32_e32 v18, v5, v9
	v_add_f32_e32 v23, v12, v17
	v_fma_mixlo_f16 v18, s8, v18, 0
	v_add_f32_e32 v24, v0, v6
	v_fma_mixhi_f16 v21, s8, v22, 0
	v_add_f32_e32 v22, v4, v8
	v_fma_mixhi_f16 v20, s8, v23, 0
	v_fma_mixhi_f16 v19, s8, v24, 0
	;; [unrolled: 1-line block ×3, first 2 shown]
	global_store_dwordx4 v1, v[18:21], s[2:3]
	s_or_b64 exec, exec, s[4:5]
	s_and_saveexec_b64 s[4:5], s[0:1]
	s_cbranch_execz .LBB19_6
.LBB19_8:
	v_sub_f32_e32 v1, v4, v8
	v_sub_f32_e32 v0, v0, v6
	;; [unrolled: 1-line block ×6, first 2 shown]
	v_fma_mixlo_f16 v3, s8, v3, 0
	v_fma_mixlo_f16 v4, s8, v4, 0
	v_sub_f32_e32 v7, v12, v17
	v_sub_f32_e32 v8, v10, v14
	v_fma_mixlo_f16 v5, s8, v5, 0
	v_fma_mixlo_f16 v6, s8, v6, 0
	v_fma_mixhi_f16 v6, s8, v8, 0
	v_fma_mixhi_f16 v5, s8, v7, 0
	;; [unrolled: 1-line block ×4, first 2 shown]
	global_store_dwordx4 v2, v[3:6], s[2:3]
	s_endpgm
	.section	.rodata,"a",@progbits
	.p2align	6, 0x0
	.amdhsa_kernel _Z30fast_hadamard_transform_kernelI37fast_hadamard_transform_kernel_traitsILi32ELi9E6__halfEEv18HadamardParamsBase
		.amdhsa_group_segment_fixed_size 0
		.amdhsa_private_segment_fixed_size 0
		.amdhsa_kernarg_size 312
		.amdhsa_user_sgpr_count 6
		.amdhsa_user_sgpr_private_segment_buffer 1
		.amdhsa_user_sgpr_dispatch_ptr 0
		.amdhsa_user_sgpr_queue_ptr 0
		.amdhsa_user_sgpr_kernarg_segment_ptr 1
		.amdhsa_user_sgpr_dispatch_id 0
		.amdhsa_user_sgpr_flat_scratch_init 0
		.amdhsa_user_sgpr_private_segment_size 0
		.amdhsa_uses_dynamic_stack 0
		.amdhsa_system_sgpr_private_segment_wavefront_offset 0
		.amdhsa_system_sgpr_workgroup_id_x 1
		.amdhsa_system_sgpr_workgroup_id_y 0
		.amdhsa_system_sgpr_workgroup_id_z 0
		.amdhsa_system_sgpr_workgroup_info 0
		.amdhsa_system_vgpr_workitem_id 0
		.amdhsa_next_free_vgpr 27
		.amdhsa_next_free_sgpr 20
		.amdhsa_reserve_vcc 1
		.amdhsa_reserve_flat_scratch 0
		.amdhsa_float_round_mode_32 0
		.amdhsa_float_round_mode_16_64 0
		.amdhsa_float_denorm_mode_32 3
		.amdhsa_float_denorm_mode_16_64 3
		.amdhsa_dx10_clamp 1
		.amdhsa_ieee_mode 1
		.amdhsa_fp16_overflow 0
		.amdhsa_exception_fp_ieee_invalid_op 0
		.amdhsa_exception_fp_denorm_src 0
		.amdhsa_exception_fp_ieee_div_zero 0
		.amdhsa_exception_fp_ieee_overflow 0
		.amdhsa_exception_fp_ieee_underflow 0
		.amdhsa_exception_fp_ieee_inexact 0
		.amdhsa_exception_int_div_zero 0
	.end_amdhsa_kernel
	.section	.text._Z30fast_hadamard_transform_kernelI37fast_hadamard_transform_kernel_traitsILi32ELi9E6__halfEEv18HadamardParamsBase,"axG",@progbits,_Z30fast_hadamard_transform_kernelI37fast_hadamard_transform_kernel_traitsILi32ELi9E6__halfEEv18HadamardParamsBase,comdat
.Lfunc_end19:
	.size	_Z30fast_hadamard_transform_kernelI37fast_hadamard_transform_kernel_traitsILi32ELi9E6__halfEEv18HadamardParamsBase, .Lfunc_end19-_Z30fast_hadamard_transform_kernelI37fast_hadamard_transform_kernel_traitsILi32ELi9E6__halfEEv18HadamardParamsBase
                                        ; -- End function
	.set _Z30fast_hadamard_transform_kernelI37fast_hadamard_transform_kernel_traitsILi32ELi9E6__halfEEv18HadamardParamsBase.num_vgpr, 27
	.set _Z30fast_hadamard_transform_kernelI37fast_hadamard_transform_kernel_traitsILi32ELi9E6__halfEEv18HadamardParamsBase.num_agpr, 0
	.set _Z30fast_hadamard_transform_kernelI37fast_hadamard_transform_kernel_traitsILi32ELi9E6__halfEEv18HadamardParamsBase.numbered_sgpr, 20
	.set _Z30fast_hadamard_transform_kernelI37fast_hadamard_transform_kernel_traitsILi32ELi9E6__halfEEv18HadamardParamsBase.num_named_barrier, 0
	.set _Z30fast_hadamard_transform_kernelI37fast_hadamard_transform_kernel_traitsILi32ELi9E6__halfEEv18HadamardParamsBase.private_seg_size, 0
	.set _Z30fast_hadamard_transform_kernelI37fast_hadamard_transform_kernel_traitsILi32ELi9E6__halfEEv18HadamardParamsBase.uses_vcc, 1
	.set _Z30fast_hadamard_transform_kernelI37fast_hadamard_transform_kernel_traitsILi32ELi9E6__halfEEv18HadamardParamsBase.uses_flat_scratch, 0
	.set _Z30fast_hadamard_transform_kernelI37fast_hadamard_transform_kernel_traitsILi32ELi9E6__halfEEv18HadamardParamsBase.has_dyn_sized_stack, 0
	.set _Z30fast_hadamard_transform_kernelI37fast_hadamard_transform_kernel_traitsILi32ELi9E6__halfEEv18HadamardParamsBase.has_recursion, 0
	.set _Z30fast_hadamard_transform_kernelI37fast_hadamard_transform_kernel_traitsILi32ELi9E6__halfEEv18HadamardParamsBase.has_indirect_call, 0
	.section	.AMDGPU.csdata,"",@progbits
; Kernel info:
; codeLenInByte = 2912
; TotalNumSgprs: 24
; NumVgprs: 27
; ScratchSize: 0
; MemoryBound: 0
; FloatMode: 240
; IeeeMode: 1
; LDSByteSize: 0 bytes/workgroup (compile time only)
; SGPRBlocks: 2
; VGPRBlocks: 6
; NumSGPRsForWavesPerEU: 24
; NumVGPRsForWavesPerEU: 27
; Occupancy: 9
; WaveLimiterHint : 0
; COMPUTE_PGM_RSRC2:SCRATCH_EN: 0
; COMPUTE_PGM_RSRC2:USER_SGPR: 6
; COMPUTE_PGM_RSRC2:TRAP_HANDLER: 0
; COMPUTE_PGM_RSRC2:TGID_X_EN: 1
; COMPUTE_PGM_RSRC2:TGID_Y_EN: 0
; COMPUTE_PGM_RSRC2:TGID_Z_EN: 0
; COMPUTE_PGM_RSRC2:TIDIG_COMP_CNT: 0
	.section	.text._Z30fast_hadamard_transform_kernelI37fast_hadamard_transform_kernel_traitsILi128ELi10E6__halfEEv18HadamardParamsBase,"axG",@progbits,_Z30fast_hadamard_transform_kernelI37fast_hadamard_transform_kernel_traitsILi128ELi10E6__halfEEv18HadamardParamsBase,comdat
	.protected	_Z30fast_hadamard_transform_kernelI37fast_hadamard_transform_kernel_traitsILi128ELi10E6__halfEEv18HadamardParamsBase ; -- Begin function _Z30fast_hadamard_transform_kernelI37fast_hadamard_transform_kernel_traitsILi128ELi10E6__halfEEv18HadamardParamsBase
	.globl	_Z30fast_hadamard_transform_kernelI37fast_hadamard_transform_kernel_traitsILi128ELi10E6__halfEEv18HadamardParamsBase
	.p2align	8
	.type	_Z30fast_hadamard_transform_kernelI37fast_hadamard_transform_kernel_traitsILi128ELi10E6__halfEEv18HadamardParamsBase,@function
_Z30fast_hadamard_transform_kernelI37fast_hadamard_transform_kernel_traitsILi128ELi10E6__halfEEv18HadamardParamsBase: ; @_Z30fast_hadamard_transform_kernelI37fast_hadamard_transform_kernel_traitsILi128ELi10E6__halfEEv18HadamardParamsBase
; %bb.0:
	s_load_dword s0, s[4:5], 0x4
	v_lshlrev_b32_e32 v1, 3, v0
	s_ashr_i32 s7, s6, 31
	v_mov_b32_e32 v2, 0
	v_mov_b32_e32 v3, 0
	s_waitcnt lgkmcnt(0)
	v_cmp_gt_u32_e32 vcc, s0, v1
	v_lshlrev_b32_e32 v1, 4, v0
	v_mov_b32_e32 v4, 0
	v_mov_b32_e32 v5, 0
	;; [unrolled: 1-line block ×6, first 2 shown]
	s_and_saveexec_b64 s[0:1], vcc
	s_cbranch_execz .LBB20_2
; %bb.1:
	s_load_dwordx2 s[2:3], s[4:5], 0x10
	s_load_dwordx2 s[8:9], s[4:5], 0x28
	s_waitcnt lgkmcnt(0)
	s_mul_i32 s10, s2, s7
	s_mul_hi_u32 s11, s2, s6
	s_mul_i32 s3, s3, s6
	s_add_i32 s10, s11, s10
	s_mul_i32 s2, s2, s6
	s_add_i32 s3, s10, s3
	s_lshl_b64 s[2:3], s[2:3], 1
	s_add_u32 s2, s8, s2
	s_addc_u32 s3, s9, s3
	global_load_dwordx4 v[10:13], v1, s[2:3]
	s_waitcnt vmcnt(0)
	v_cvt_f32_f16_e32 v9, v10
	v_cvt_f32_f16_sdwa v8, v10 dst_sel:DWORD dst_unused:UNUSED_PAD src0_sel:WORD_1
	v_cvt_f32_f16_e32 v7, v11
	v_cvt_f32_f16_sdwa v6, v11 dst_sel:DWORD dst_unused:UNUSED_PAD src0_sel:WORD_1
	;; [unrolled: 2-line block ×4, first 2 shown]
.LBB20_2:
	s_or_b64 exec, exec, s[0:1]
	v_add_f32_e32 v10, v8, v9
	v_sub_f32_e32 v8, v9, v8
	v_add_f32_e32 v9, v6, v7
	v_sub_f32_e32 v6, v7, v6
	;; [unrolled: 2-line block ×12, first 2 shown]
	v_mbcnt_lo_u32_b32 v6, -1, 0
	v_mbcnt_hi_u32_b32 v6, -1, v6
	v_and_b32_e32 v11, 64, v6
	v_add_u32_e32 v11, 64, v11
	v_xor_b32_e32 v12, 1, v6
	v_cmp_lt_i32_e64 s[0:1], v12, v11
	v_cndmask_b32_e64 v12, v6, v12, s[0:1]
	v_lshlrev_b32_e32 v12, 2, v12
	ds_bpermute_b32 v13, v12, v4
	v_and_b32_e32 v14, 1, v0
	v_cmp_eq_u32_e64 s[0:1], 0, v14
	v_cndmask_b32_e64 v4, -v4, v4, s[0:1]
	ds_bpermute_b32 v15, v12, v8
	s_waitcnt lgkmcnt(1)
	v_add_f32_e32 v4, v4, v13
	ds_bpermute_b32 v13, v12, v10
	v_cndmask_b32_e64 v10, -v10, v10, s[0:1]
	v_cndmask_b32_e64 v8, -v8, v8, s[0:1]
	s_waitcnt lgkmcnt(1)
	v_add_f32_e32 v8, v8, v15
	ds_bpermute_b32 v15, v12, v9
	s_waitcnt lgkmcnt(1)
	v_add_f32_e32 v10, v10, v13
	ds_bpermute_b32 v13, v12, v3
	v_cndmask_b32_e64 v3, -v3, v3, s[0:1]
	v_cndmask_b32_e64 v9, -v9, v9, s[0:1]
	s_waitcnt lgkmcnt(1)
	v_add_f32_e32 v9, v9, v15
	ds_bpermute_b32 v15, v12, v7
	s_waitcnt lgkmcnt(1)
	v_add_f32_e32 v3, v3, v13
	ds_bpermute_b32 v13, v12, v5
	v_cndmask_b32_e64 v5, -v5, v5, s[0:1]
	ds_bpermute_b32 v16, v12, v2
	v_cndmask_b32_e64 v7, -v7, v7, s[0:1]
	s_waitcnt lgkmcnt(2)
	v_add_f32_e32 v7, v7, v15
	s_waitcnt lgkmcnt(1)
	v_add_f32_e32 v5, v5, v13
	v_xor_b32_e32 v13, 2, v6
	v_cmp_lt_i32_e64 s[2:3], v13, v11
	v_cndmask_b32_e64 v13, v6, v13, s[2:3]
	v_lshlrev_b32_e32 v13, 2, v13
	ds_bpermute_b32 v15, v13, v4
	v_cndmask_b32_e64 v2, -v2, v2, s[0:1]
	s_waitcnt lgkmcnt(1)
	v_add_f32_e32 v2, v2, v16
	v_and_b32_e32 v16, 2, v0
	v_cmp_eq_u32_e64 s[2:3], 0, v16
	v_cndmask_b32_e64 v4, -v4, v4, s[2:3]
	s_waitcnt lgkmcnt(0)
	v_add_f32_e32 v4, v4, v15
	ds_bpermute_b32 v15, v13, v10
	v_cndmask_b32_e64 v10, -v10, v10, s[2:3]
	ds_bpermute_b32 v16, v13, v9
	v_cndmask_b32_e64 v9, -v9, v9, s[2:3]
	ds_bpermute_b32 v17, v13, v8
	s_waitcnt lgkmcnt(2)
	v_add_f32_e32 v10, v10, v15
	ds_bpermute_b32 v15, v13, v3
	v_cndmask_b32_e64 v3, -v3, v3, s[2:3]
	s_waitcnt lgkmcnt(2)
	v_add_f32_e32 v9, v9, v16
	ds_bpermute_b32 v16, v13, v7
	v_cndmask_b32_e64 v8, -v8, v8, s[2:3]
	s_waitcnt lgkmcnt(1)
	v_add_f32_e32 v3, v3, v15
	ds_bpermute_b32 v15, v13, v5
	ds_bpermute_b32 v13, v13, v2
	v_cndmask_b32_e64 v2, -v2, v2, s[2:3]
	v_cndmask_b32_e64 v7, -v7, v7, s[2:3]
	;; [unrolled: 1-line block ×3, first 2 shown]
	s_waitcnt lgkmcnt(1)
	v_add_f32_e32 v5, v5, v15
	s_waitcnt lgkmcnt(0)
	v_add_f32_e32 v2, v2, v13
	v_xor_b32_e32 v13, 4, v6
	v_cmp_lt_i32_e64 s[2:3], v13, v11
	v_cndmask_b32_e64 v13, v6, v13, s[2:3]
	v_lshlrev_b32_e32 v13, 2, v13
	ds_bpermute_b32 v15, v13, v4
	v_add_f32_e32 v7, v7, v16
	v_and_b32_e32 v16, 4, v0
	v_cmp_eq_u32_e64 s[2:3], 0, v16
	v_cndmask_b32_e64 v4, -v4, v4, s[2:3]
	s_waitcnt lgkmcnt(0)
	v_add_f32_e32 v4, v4, v15
	ds_bpermute_b32 v15, v13, v10
	v_cndmask_b32_e64 v10, -v10, v10, s[2:3]
	ds_bpermute_b32 v16, v13, v9
	v_add_f32_e32 v8, v8, v17
	v_cndmask_b32_e64 v9, -v9, v9, s[2:3]
	s_waitcnt lgkmcnt(1)
	v_add_f32_e32 v10, v10, v15
	ds_bpermute_b32 v15, v13, v3
	v_cndmask_b32_e64 v3, -v3, v3, s[2:3]
	ds_bpermute_b32 v17, v13, v8
	s_waitcnt lgkmcnt(2)
	v_add_f32_e32 v9, v9, v16
	ds_bpermute_b32 v16, v13, v7
	s_waitcnt lgkmcnt(2)
	v_add_f32_e32 v3, v3, v15
	ds_bpermute_b32 v15, v13, v5
	ds_bpermute_b32 v13, v13, v2
	v_cndmask_b32_e64 v2, -v2, v2, s[2:3]
	v_cndmask_b32_e64 v8, -v8, v8, s[2:3]
	v_cndmask_b32_e64 v7, -v7, v7, s[2:3]
	v_cndmask_b32_e64 v5, -v5, v5, s[2:3]
	s_waitcnt lgkmcnt(0)
	v_add_f32_e32 v2, v2, v13
	v_xor_b32_e32 v13, 8, v6
	v_cmp_lt_i32_e64 s[2:3], v13, v11
	v_cndmask_b32_e64 v13, v6, v13, s[2:3]
	v_lshlrev_b32_e32 v13, 2, v13
	v_add_f32_e32 v5, v5, v15
	ds_bpermute_b32 v15, v13, v4
	v_add_f32_e32 v7, v7, v16
	v_and_b32_e32 v16, 8, v0
	v_cmp_eq_u32_e64 s[2:3], 0, v16
	v_cndmask_b32_e64 v4, -v4, v4, s[2:3]
	s_waitcnt lgkmcnt(0)
	v_add_f32_e32 v4, v4, v15
	ds_bpermute_b32 v15, v13, v10
	v_cndmask_b32_e64 v10, -v10, v10, s[2:3]
	ds_bpermute_b32 v16, v13, v9
	v_add_f32_e32 v8, v8, v17
	v_cndmask_b32_e64 v9, -v9, v9, s[2:3]
	s_waitcnt lgkmcnt(1)
	v_add_f32_e32 v10, v10, v15
	ds_bpermute_b32 v15, v13, v3
	v_cndmask_b32_e64 v3, -v3, v3, s[2:3]
	ds_bpermute_b32 v17, v13, v8
	s_waitcnt lgkmcnt(2)
	v_add_f32_e32 v9, v9, v16
	ds_bpermute_b32 v16, v13, v7
	s_waitcnt lgkmcnt(2)
	v_add_f32_e32 v3, v3, v15
	ds_bpermute_b32 v15, v13, v5
	ds_bpermute_b32 v13, v13, v2
	v_cndmask_b32_e64 v2, -v2, v2, s[2:3]
	v_cndmask_b32_e64 v8, -v8, v8, s[2:3]
	v_cndmask_b32_e64 v7, -v7, v7, s[2:3]
	v_cndmask_b32_e64 v5, -v5, v5, s[2:3]
	s_waitcnt lgkmcnt(0)
	v_add_f32_e32 v2, v2, v13
	v_xor_b32_e32 v13, 16, v6
	v_cmp_lt_i32_e64 s[2:3], v13, v11
	v_cndmask_b32_e64 v13, v6, v13, s[2:3]
	v_lshlrev_b32_e32 v13, 2, v13
	v_add_f32_e32 v5, v5, v15
	ds_bpermute_b32 v15, v13, v4
	v_add_f32_e32 v7, v7, v16
	v_and_b32_e32 v16, 16, v0
	v_cmp_eq_u32_e64 s[2:3], 0, v16
	v_cndmask_b32_e64 v4, -v4, v4, s[2:3]
	s_waitcnt lgkmcnt(0)
	v_add_f32_e32 v4, v4, v15
	ds_bpermute_b32 v15, v13, v10
	v_cndmask_b32_e64 v10, -v10, v10, s[2:3]
	ds_bpermute_b32 v16, v13, v9
	v_add_f32_e32 v8, v8, v17
	v_cndmask_b32_e64 v9, -v9, v9, s[2:3]
	s_waitcnt lgkmcnt(1)
	v_add_f32_e32 v10, v10, v15
	ds_bpermute_b32 v15, v13, v3
	v_cndmask_b32_e64 v3, -v3, v3, s[2:3]
	ds_bpermute_b32 v17, v13, v8
	s_waitcnt lgkmcnt(2)
	v_add_f32_e32 v9, v9, v16
	ds_bpermute_b32 v16, v13, v7
	s_waitcnt lgkmcnt(2)
	v_add_f32_e32 v15, v3, v15
	ds_bpermute_b32 v3, v13, v5
	ds_bpermute_b32 v13, v13, v2
	v_cndmask_b32_e64 v2, -v2, v2, s[2:3]
	v_cndmask_b32_e64 v8, -v8, v8, s[2:3]
	v_cndmask_b32_e64 v7, -v7, v7, s[2:3]
	v_cndmask_b32_e64 v5, -v5, v5, s[2:3]
	s_waitcnt lgkmcnt(0)
	v_add_f32_e32 v13, v2, v13
	v_xor_b32_e32 v2, 32, v6
	v_cmp_lt_i32_e64 s[2:3], v2, v11
	v_cndmask_b32_e64 v2, v6, v2, s[2:3]
	v_lshlrev_b32_e32 v11, 2, v2
	v_add_f32_e32 v8, v8, v17
	v_add_f32_e32 v7, v7, v16
	v_add_f32_e32 v16, v5, v3
	ds_bpermute_b32 v2, v11, v4
	v_and_b32_e32 v3, 32, v0
	ds_bpermute_b32 v5, v11, v8
	v_cmp_eq_u32_e64 s[2:3], 0, v3
	v_cndmask_b32_e64 v3, -v4, v4, s[2:3]
	ds_bpermute_b32 v4, v11, v10
	s_waitcnt lgkmcnt(2)
	v_add_f32_e32 v2, v3, v2
	v_cndmask_b32_e64 v3, -v8, v8, s[2:3]
	s_waitcnt lgkmcnt(1)
	v_add_f32_e32 v3, v3, v5
	ds_bpermute_b32 v5, v11, v9
	v_cndmask_b32_e64 v6, -v10, v10, s[2:3]
	s_waitcnt lgkmcnt(1)
	v_add_f32_e32 v4, v6, v4
	ds_bpermute_b32 v6, v11, v15
	v_cndmask_b32_e64 v8, -v9, v9, s[2:3]
	s_waitcnt lgkmcnt(1)
	v_add_f32_e32 v5, v8, v5
	v_cndmask_b32_e64 v8, -v15, v15, s[2:3]
	ds_bpermute_b32 v9, v11, v7
	s_waitcnt lgkmcnt(1)
	v_add_f32_e32 v6, v8, v6
	ds_bpermute_b32 v8, v11, v16
	ds_bpermute_b32 v10, v11, v13
	v_cndmask_b32_e64 v7, -v7, v7, s[2:3]
	s_waitcnt lgkmcnt(2)
	v_add_f32_e32 v7, v7, v9
	v_cndmask_b32_e64 v9, -v16, v16, s[2:3]
	s_waitcnt lgkmcnt(1)
	v_add_f32_e32 v8, v9, v8
	;; [unrolled: 3-line block ×3, first 2 shown]
	v_lshrrev_b32_e32 v10, 6, v0
	v_lshrrev_b32_e32 v11, 1, v0
	v_xor_b32_e32 v0, v10, v0
	v_lshl_or_b32 v10, v14, 6, v11
	v_xor_b32_e32 v10, v10, v14
	v_lshl_add_u32 v0, v0, 4, 0
	v_lshl_add_u32 v10, v10, 4, 0
	s_barrier
	ds_write_b128 v0, v[2:5]
	ds_write_b128 v0, v[6:9] offset:2048
	s_waitcnt lgkmcnt(0)
	s_barrier
	ds_read_b128 v[2:5], v10
	ds_read_b128 v[6:9], v10 offset:2048
	s_waitcnt lgkmcnt(0)
	s_barrier
	ds_bpermute_b32 v11, v12, v2
	v_cndmask_b32_e64 v2, -v2, v2, s[0:1]
	ds_bpermute_b32 v13, v12, v3
	v_cndmask_b32_e64 v3, -v3, v3, s[0:1]
	s_waitcnt lgkmcnt(1)
	v_add_f32_e32 v2, v2, v11
	ds_bpermute_b32 v11, v12, v4
	v_cndmask_b32_e64 v4, -v4, v4, s[0:1]
	s_waitcnt lgkmcnt(1)
	v_add_f32_e32 v3, v3, v13
	;; [unrolled: 4-line block ×5, first 2 shown]
	ds_bpermute_b32 v11, v12, v8
	ds_bpermute_b32 v12, v12, v9
	v_cndmask_b32_e64 v8, -v8, v8, s[0:1]
	v_cndmask_b32_e64 v9, -v9, v9, s[0:1]
	s_waitcnt lgkmcnt(2)
	v_add_f32_e32 v7, v7, v13
	s_waitcnt lgkmcnt(1)
	v_add_f32_e32 v8, v8, v11
	;; [unrolled: 2-line block ×3, first 2 shown]
	ds_write_b128 v10, v[2:5]
	ds_write_b128 v10, v[6:9] offset:2048
	s_waitcnt lgkmcnt(0)
	s_barrier
	s_and_saveexec_b64 s[0:1], vcc
	s_cbranch_execz .LBB20_4
; %bb.3:
	s_load_dwordx2 s[0:1], s[4:5], 0x18
	s_load_dwordx2 s[2:3], s[4:5], 0x30
	s_load_dword s8, s[4:5], 0x20
	ds_read_b128 v[2:5], v0 offset:2048
	ds_read_b128 v[6:9], v0
	s_waitcnt lgkmcnt(0)
	s_mul_i32 s4, s0, s7
	s_mul_hi_u32 s5, s0, s6
	s_mul_i32 s1, s1, s6
	s_add_i32 s4, s5, s4
	s_add_i32 s1, s4, s1
	s_mul_i32 s0, s0, s6
	s_lshl_b64 s[0:1], s[0:1], 1
	s_add_u32 s0, s2, s0
	v_fma_mixlo_f16 v13, s8, v4, 0
	v_fma_mixlo_f16 v12, s8, v2, 0
	v_fma_mixlo_f16 v11, s8, v8, 0
	v_fma_mixlo_f16 v10, s8, v6, 0
	s_addc_u32 s1, s3, s1
	v_fma_mixhi_f16 v13, s8, v5, 0
	v_fma_mixhi_f16 v12, s8, v3, 0
	;; [unrolled: 1-line block ×4, first 2 shown]
	global_store_dwordx4 v1, v[10:13], s[0:1]
.LBB20_4:
	s_endpgm
	.section	.rodata,"a",@progbits
	.p2align	6, 0x0
	.amdhsa_kernel _Z30fast_hadamard_transform_kernelI37fast_hadamard_transform_kernel_traitsILi128ELi10E6__halfEEv18HadamardParamsBase
		.amdhsa_group_segment_fixed_size 0
		.amdhsa_private_segment_fixed_size 0
		.amdhsa_kernarg_size 56
		.amdhsa_user_sgpr_count 6
		.amdhsa_user_sgpr_private_segment_buffer 1
		.amdhsa_user_sgpr_dispatch_ptr 0
		.amdhsa_user_sgpr_queue_ptr 0
		.amdhsa_user_sgpr_kernarg_segment_ptr 1
		.amdhsa_user_sgpr_dispatch_id 0
		.amdhsa_user_sgpr_flat_scratch_init 0
		.amdhsa_user_sgpr_private_segment_size 0
		.amdhsa_uses_dynamic_stack 0
		.amdhsa_system_sgpr_private_segment_wavefront_offset 0
		.amdhsa_system_sgpr_workgroup_id_x 1
		.amdhsa_system_sgpr_workgroup_id_y 0
		.amdhsa_system_sgpr_workgroup_id_z 0
		.amdhsa_system_sgpr_workgroup_info 0
		.amdhsa_system_vgpr_workitem_id 0
		.amdhsa_next_free_vgpr 18
		.amdhsa_next_free_sgpr 12
		.amdhsa_reserve_vcc 1
		.amdhsa_reserve_flat_scratch 0
		.amdhsa_float_round_mode_32 0
		.amdhsa_float_round_mode_16_64 0
		.amdhsa_float_denorm_mode_32 3
		.amdhsa_float_denorm_mode_16_64 3
		.amdhsa_dx10_clamp 1
		.amdhsa_ieee_mode 1
		.amdhsa_fp16_overflow 0
		.amdhsa_exception_fp_ieee_invalid_op 0
		.amdhsa_exception_fp_denorm_src 0
		.amdhsa_exception_fp_ieee_div_zero 0
		.amdhsa_exception_fp_ieee_overflow 0
		.amdhsa_exception_fp_ieee_underflow 0
		.amdhsa_exception_fp_ieee_inexact 0
		.amdhsa_exception_int_div_zero 0
	.end_amdhsa_kernel
	.section	.text._Z30fast_hadamard_transform_kernelI37fast_hadamard_transform_kernel_traitsILi128ELi10E6__halfEEv18HadamardParamsBase,"axG",@progbits,_Z30fast_hadamard_transform_kernelI37fast_hadamard_transform_kernel_traitsILi128ELi10E6__halfEEv18HadamardParamsBase,comdat
.Lfunc_end20:
	.size	_Z30fast_hadamard_transform_kernelI37fast_hadamard_transform_kernel_traitsILi128ELi10E6__halfEEv18HadamardParamsBase, .Lfunc_end20-_Z30fast_hadamard_transform_kernelI37fast_hadamard_transform_kernel_traitsILi128ELi10E6__halfEEv18HadamardParamsBase
                                        ; -- End function
	.set _Z30fast_hadamard_transform_kernelI37fast_hadamard_transform_kernel_traitsILi128ELi10E6__halfEEv18HadamardParamsBase.num_vgpr, 18
	.set _Z30fast_hadamard_transform_kernelI37fast_hadamard_transform_kernel_traitsILi128ELi10E6__halfEEv18HadamardParamsBase.num_agpr, 0
	.set _Z30fast_hadamard_transform_kernelI37fast_hadamard_transform_kernel_traitsILi128ELi10E6__halfEEv18HadamardParamsBase.numbered_sgpr, 12
	.set _Z30fast_hadamard_transform_kernelI37fast_hadamard_transform_kernel_traitsILi128ELi10E6__halfEEv18HadamardParamsBase.num_named_barrier, 0
	.set _Z30fast_hadamard_transform_kernelI37fast_hadamard_transform_kernel_traitsILi128ELi10E6__halfEEv18HadamardParamsBase.private_seg_size, 0
	.set _Z30fast_hadamard_transform_kernelI37fast_hadamard_transform_kernel_traitsILi128ELi10E6__halfEEv18HadamardParamsBase.uses_vcc, 1
	.set _Z30fast_hadamard_transform_kernelI37fast_hadamard_transform_kernel_traitsILi128ELi10E6__halfEEv18HadamardParamsBase.uses_flat_scratch, 0
	.set _Z30fast_hadamard_transform_kernelI37fast_hadamard_transform_kernel_traitsILi128ELi10E6__halfEEv18HadamardParamsBase.has_dyn_sized_stack, 0
	.set _Z30fast_hadamard_transform_kernelI37fast_hadamard_transform_kernel_traitsILi128ELi10E6__halfEEv18HadamardParamsBase.has_recursion, 0
	.set _Z30fast_hadamard_transform_kernelI37fast_hadamard_transform_kernel_traitsILi128ELi10E6__halfEEv18HadamardParamsBase.has_indirect_call, 0
	.section	.AMDGPU.csdata,"",@progbits
; Kernel info:
; codeLenInByte = 2104
; TotalNumSgprs: 16
; NumVgprs: 18
; ScratchSize: 0
; MemoryBound: 0
; FloatMode: 240
; IeeeMode: 1
; LDSByteSize: 0 bytes/workgroup (compile time only)
; SGPRBlocks: 1
; VGPRBlocks: 4
; NumSGPRsForWavesPerEU: 16
; NumVGPRsForWavesPerEU: 18
; Occupancy: 10
; WaveLimiterHint : 0
; COMPUTE_PGM_RSRC2:SCRATCH_EN: 0
; COMPUTE_PGM_RSRC2:USER_SGPR: 6
; COMPUTE_PGM_RSRC2:TRAP_HANDLER: 0
; COMPUTE_PGM_RSRC2:TGID_X_EN: 1
; COMPUTE_PGM_RSRC2:TGID_Y_EN: 0
; COMPUTE_PGM_RSRC2:TGID_Z_EN: 0
; COMPUTE_PGM_RSRC2:TIDIG_COMP_CNT: 0
	.section	.text._Z30fast_hadamard_transform_kernelI37fast_hadamard_transform_kernel_traitsILi256ELi11E6__halfEEv18HadamardParamsBase,"axG",@progbits,_Z30fast_hadamard_transform_kernelI37fast_hadamard_transform_kernel_traitsILi256ELi11E6__halfEEv18HadamardParamsBase,comdat
	.protected	_Z30fast_hadamard_transform_kernelI37fast_hadamard_transform_kernel_traitsILi256ELi11E6__halfEEv18HadamardParamsBase ; -- Begin function _Z30fast_hadamard_transform_kernelI37fast_hadamard_transform_kernel_traitsILi256ELi11E6__halfEEv18HadamardParamsBase
	.globl	_Z30fast_hadamard_transform_kernelI37fast_hadamard_transform_kernel_traitsILi256ELi11E6__halfEEv18HadamardParamsBase
	.p2align	8
	.type	_Z30fast_hadamard_transform_kernelI37fast_hadamard_transform_kernel_traitsILi256ELi11E6__halfEEv18HadamardParamsBase,@function
_Z30fast_hadamard_transform_kernelI37fast_hadamard_transform_kernel_traitsILi256ELi11E6__halfEEv18HadamardParamsBase: ; @_Z30fast_hadamard_transform_kernelI37fast_hadamard_transform_kernel_traitsILi256ELi11E6__halfEEv18HadamardParamsBase
; %bb.0:
	s_load_dword s0, s[4:5], 0x4
	v_lshlrev_b32_e32 v1, 3, v0
	s_ashr_i32 s7, s6, 31
	v_mov_b32_e32 v2, 0
	v_mov_b32_e32 v3, 0
	s_waitcnt lgkmcnt(0)
	v_cmp_gt_u32_e32 vcc, s0, v1
	v_lshlrev_b32_e32 v1, 4, v0
	v_mov_b32_e32 v4, 0
	v_mov_b32_e32 v5, 0
	;; [unrolled: 1-line block ×6, first 2 shown]
	s_and_saveexec_b64 s[0:1], vcc
	s_cbranch_execz .LBB21_2
; %bb.1:
	s_load_dwordx2 s[2:3], s[4:5], 0x10
	s_load_dwordx2 s[8:9], s[4:5], 0x28
	s_waitcnt lgkmcnt(0)
	s_mul_i32 s10, s2, s7
	s_mul_hi_u32 s11, s2, s6
	s_mul_i32 s3, s3, s6
	s_add_i32 s10, s11, s10
	s_mul_i32 s2, s2, s6
	s_add_i32 s3, s10, s3
	s_lshl_b64 s[2:3], s[2:3], 1
	s_add_u32 s2, s8, s2
	s_addc_u32 s3, s9, s3
	global_load_dwordx4 v[10:13], v1, s[2:3]
	s_waitcnt vmcnt(0)
	v_cvt_f32_f16_e32 v9, v10
	v_cvt_f32_f16_sdwa v8, v10 dst_sel:DWORD dst_unused:UNUSED_PAD src0_sel:WORD_1
	v_cvt_f32_f16_e32 v7, v11
	v_cvt_f32_f16_sdwa v6, v11 dst_sel:DWORD dst_unused:UNUSED_PAD src0_sel:WORD_1
	v_cvt_f32_f16_e32 v5, v12
	v_cvt_f32_f16_sdwa v4, v12 dst_sel:DWORD dst_unused:UNUSED_PAD src0_sel:WORD_1
	v_cvt_f32_f16_e32 v3, v13
	v_cvt_f32_f16_sdwa v2, v13 dst_sel:DWORD dst_unused:UNUSED_PAD src0_sel:WORD_1
.LBB21_2:
	s_or_b64 exec, exec, s[0:1]
	v_add_f32_e32 v10, v8, v9
	v_sub_f32_e32 v8, v9, v8
	v_add_f32_e32 v9, v6, v7
	v_sub_f32_e32 v6, v7, v6
	;; [unrolled: 2-line block ×12, first 2 shown]
	v_mbcnt_lo_u32_b32 v6, -1, 0
	v_mbcnt_hi_u32_b32 v6, -1, v6
	v_and_b32_e32 v11, 64, v6
	v_add_u32_e32 v11, 64, v11
	v_xor_b32_e32 v12, 1, v6
	v_cmp_lt_i32_e64 s[0:1], v12, v11
	v_cndmask_b32_e64 v12, v6, v12, s[0:1]
	v_lshlrev_b32_e32 v12, 2, v12
	ds_bpermute_b32 v13, v12, v4
	v_and_b32_e32 v14, 1, v0
	v_cmp_eq_u32_e64 s[0:1], 0, v14
	v_cndmask_b32_e64 v4, -v4, v4, s[0:1]
	ds_bpermute_b32 v14, v12, v9
	s_waitcnt lgkmcnt(1)
	v_add_f32_e32 v4, v4, v13
	ds_bpermute_b32 v13, v12, v10
	v_cndmask_b32_e64 v10, -v10, v10, s[0:1]
	ds_bpermute_b32 v15, v12, v8
	v_cndmask_b32_e64 v9, -v9, v9, s[0:1]
	s_waitcnt lgkmcnt(2)
	v_add_f32_e32 v9, v9, v14
	s_waitcnt lgkmcnt(1)
	v_add_f32_e32 v10, v10, v13
	ds_bpermute_b32 v13, v12, v3
	v_cndmask_b32_e64 v3, -v3, v3, s[0:1]
	ds_bpermute_b32 v14, v12, v7
	v_cndmask_b32_e64 v8, -v8, v8, s[0:1]
	s_waitcnt lgkmcnt(2)
	v_add_f32_e32 v8, v8, v15
	s_waitcnt lgkmcnt(1)
	v_add_f32_e32 v3, v3, v13
	ds_bpermute_b32 v13, v12, v5
	v_cndmask_b32_e64 v5, -v5, v5, s[0:1]
	ds_bpermute_b32 v15, v12, v2
	v_cndmask_b32_e64 v7, -v7, v7, s[0:1]
	s_waitcnt lgkmcnt(2)
	v_add_f32_e32 v7, v7, v14
	s_waitcnt lgkmcnt(1)
	v_add_f32_e32 v5, v5, v13
	v_xor_b32_e32 v13, 2, v6
	v_cmp_lt_i32_e64 s[2:3], v13, v11
	v_cndmask_b32_e64 v13, v6, v13, s[2:3]
	v_lshlrev_b32_e32 v13, 2, v13
	ds_bpermute_b32 v14, v13, v4
	v_cndmask_b32_e64 v2, -v2, v2, s[0:1]
	s_waitcnt lgkmcnt(1)
	v_add_f32_e32 v2, v2, v15
	v_and_b32_e32 v15, 2, v0
	v_cmp_eq_u32_e64 s[2:3], 0, v15
	v_cndmask_b32_e64 v4, -v4, v4, s[2:3]
	s_waitcnt lgkmcnt(0)
	v_add_f32_e32 v4, v4, v14
	ds_bpermute_b32 v14, v13, v10
	v_cndmask_b32_e64 v10, -v10, v10, s[2:3]
	ds_bpermute_b32 v15, v13, v9
	ds_bpermute_b32 v16, v13, v8
	v_cndmask_b32_e64 v9, -v9, v9, s[2:3]
	s_waitcnt lgkmcnt(2)
	v_add_f32_e32 v10, v10, v14
	ds_bpermute_b32 v14, v13, v3
	v_cndmask_b32_e64 v3, -v3, v3, s[2:3]
	s_waitcnt lgkmcnt(2)
	v_add_f32_e32 v9, v9, v15
	;; [unrolled: 4-line block ×3, first 2 shown]
	ds_bpermute_b32 v14, v13, v5
	v_cndmask_b32_e64 v5, -v5, v5, s[2:3]
	v_add_f32_e32 v8, v8, v16
	ds_bpermute_b32 v16, v13, v2
	v_cndmask_b32_e64 v7, -v7, v7, s[2:3]
	s_waitcnt lgkmcnt(1)
	v_add_f32_e32 v5, v5, v14
	v_xor_b32_e32 v14, 4, v6
	v_cmp_lt_i32_e64 s[8:9], v14, v11
	v_cndmask_b32_e64 v14, v6, v14, s[8:9]
	v_lshlrev_b32_e32 v14, 2, v14
	v_add_f32_e32 v7, v7, v15
	ds_bpermute_b32 v15, v14, v4
	v_cndmask_b32_e64 v2, -v2, v2, s[2:3]
	s_waitcnt lgkmcnt(1)
	v_add_f32_e32 v2, v2, v16
	v_and_b32_e32 v16, 4, v0
	v_cmp_eq_u32_e64 s[8:9], 0, v16
	v_cndmask_b32_e64 v4, -v4, v4, s[8:9]
	s_waitcnt lgkmcnt(0)
	v_add_f32_e32 v4, v4, v15
	ds_bpermute_b32 v15, v14, v10
	v_cndmask_b32_e64 v10, -v10, v10, s[8:9]
	ds_bpermute_b32 v16, v14, v9
	v_cndmask_b32_e64 v9, -v9, v9, s[8:9]
	ds_bpermute_b32 v17, v14, v8
	s_waitcnt lgkmcnt(2)
	v_add_f32_e32 v10, v10, v15
	ds_bpermute_b32 v15, v14, v3
	v_cndmask_b32_e64 v3, -v3, v3, s[8:9]
	s_waitcnt lgkmcnt(2)
	v_add_f32_e32 v9, v9, v16
	ds_bpermute_b32 v16, v14, v7
	v_cndmask_b32_e64 v8, -v8, v8, s[8:9]
	s_waitcnt lgkmcnt(1)
	v_add_f32_e32 v3, v3, v15
	ds_bpermute_b32 v15, v14, v5
	ds_bpermute_b32 v14, v14, v2
	v_cndmask_b32_e64 v2, -v2, v2, s[8:9]
	v_cndmask_b32_e64 v7, -v7, v7, s[8:9]
	;; [unrolled: 1-line block ×3, first 2 shown]
	s_waitcnt lgkmcnt(1)
	v_add_f32_e32 v5, v5, v15
	s_waitcnt lgkmcnt(0)
	v_add_f32_e32 v2, v2, v14
	v_xor_b32_e32 v14, 8, v6
	v_cmp_lt_i32_e64 s[8:9], v14, v11
	v_cndmask_b32_e64 v14, v6, v14, s[8:9]
	v_lshlrev_b32_e32 v14, 2, v14
	ds_bpermute_b32 v15, v14, v4
	v_add_f32_e32 v7, v7, v16
	v_and_b32_e32 v16, 8, v0
	v_cmp_eq_u32_e64 s[8:9], 0, v16
	v_cndmask_b32_e64 v4, -v4, v4, s[8:9]
	s_waitcnt lgkmcnt(0)
	v_add_f32_e32 v4, v4, v15
	ds_bpermute_b32 v15, v14, v10
	v_cndmask_b32_e64 v10, -v10, v10, s[8:9]
	ds_bpermute_b32 v16, v14, v9
	v_add_f32_e32 v8, v8, v17
	v_cndmask_b32_e64 v9, -v9, v9, s[8:9]
	s_waitcnt lgkmcnt(1)
	v_add_f32_e32 v10, v10, v15
	ds_bpermute_b32 v15, v14, v3
	v_cndmask_b32_e64 v3, -v3, v3, s[8:9]
	ds_bpermute_b32 v17, v14, v8
	s_waitcnt lgkmcnt(2)
	v_add_f32_e32 v9, v9, v16
	ds_bpermute_b32 v16, v14, v7
	s_waitcnt lgkmcnt(2)
	v_add_f32_e32 v3, v3, v15
	ds_bpermute_b32 v15, v14, v5
	ds_bpermute_b32 v14, v14, v2
	v_cndmask_b32_e64 v2, -v2, v2, s[8:9]
	v_cndmask_b32_e64 v8, -v8, v8, s[8:9]
	v_cndmask_b32_e64 v7, -v7, v7, s[8:9]
	v_cndmask_b32_e64 v5, -v5, v5, s[8:9]
	s_waitcnt lgkmcnt(0)
	v_add_f32_e32 v2, v2, v14
	v_xor_b32_e32 v14, 16, v6
	v_cmp_lt_i32_e64 s[8:9], v14, v11
	v_cndmask_b32_e64 v14, v6, v14, s[8:9]
	v_lshlrev_b32_e32 v14, 2, v14
	v_add_f32_e32 v5, v5, v15
	ds_bpermute_b32 v15, v14, v4
	v_add_f32_e32 v7, v7, v16
	v_and_b32_e32 v16, 16, v0
	v_cmp_eq_u32_e64 s[8:9], 0, v16
	v_cndmask_b32_e64 v4, -v4, v4, s[8:9]
	s_waitcnt lgkmcnt(0)
	v_add_f32_e32 v4, v4, v15
	ds_bpermute_b32 v15, v14, v10
	v_cndmask_b32_e64 v10, -v10, v10, s[8:9]
	ds_bpermute_b32 v16, v14, v9
	v_add_f32_e32 v8, v8, v17
	v_cndmask_b32_e64 v9, -v9, v9, s[8:9]
	s_waitcnt lgkmcnt(1)
	v_add_f32_e32 v10, v10, v15
	ds_bpermute_b32 v15, v14, v3
	v_cndmask_b32_e64 v3, -v3, v3, s[8:9]
	ds_bpermute_b32 v17, v14, v8
	s_waitcnt lgkmcnt(2)
	v_add_f32_e32 v9, v9, v16
	ds_bpermute_b32 v16, v14, v7
	s_waitcnt lgkmcnt(2)
	v_add_f32_e32 v15, v3, v15
	ds_bpermute_b32 v3, v14, v5
	ds_bpermute_b32 v14, v14, v2
	v_cndmask_b32_e64 v2, -v2, v2, s[8:9]
	v_cndmask_b32_e64 v8, -v8, v8, s[8:9]
	;; [unrolled: 1-line block ×4, first 2 shown]
	s_waitcnt lgkmcnt(0)
	v_add_f32_e32 v14, v2, v14
	v_xor_b32_e32 v2, 32, v6
	v_cmp_lt_i32_e64 s[8:9], v2, v11
	v_cndmask_b32_e64 v2, v6, v2, s[8:9]
	v_lshlrev_b32_e32 v11, 2, v2
	v_add_f32_e32 v8, v8, v17
	v_add_f32_e32 v7, v7, v16
	;; [unrolled: 1-line block ×3, first 2 shown]
	ds_bpermute_b32 v2, v11, v4
	v_and_b32_e32 v3, 32, v0
	ds_bpermute_b32 v5, v11, v8
	v_cmp_eq_u32_e64 s[8:9], 0, v3
	v_cndmask_b32_e64 v3, -v4, v4, s[8:9]
	ds_bpermute_b32 v4, v11, v10
	s_waitcnt lgkmcnt(2)
	v_add_f32_e32 v2, v3, v2
	v_cndmask_b32_e64 v3, -v8, v8, s[8:9]
	s_waitcnt lgkmcnt(1)
	v_add_f32_e32 v3, v3, v5
	ds_bpermute_b32 v5, v11, v9
	v_cndmask_b32_e64 v6, -v10, v10, s[8:9]
	s_waitcnt lgkmcnt(1)
	v_add_f32_e32 v4, v6, v4
	ds_bpermute_b32 v6, v11, v15
	v_cndmask_b32_e64 v8, -v9, v9, s[8:9]
	s_waitcnt lgkmcnt(1)
	v_add_f32_e32 v5, v8, v5
	v_cndmask_b32_e64 v8, -v15, v15, s[8:9]
	ds_bpermute_b32 v9, v11, v7
	s_waitcnt lgkmcnt(1)
	v_add_f32_e32 v6, v8, v6
	ds_bpermute_b32 v8, v11, v16
	ds_bpermute_b32 v10, v11, v14
	v_cndmask_b32_e64 v7, -v7, v7, s[8:9]
	s_waitcnt lgkmcnt(2)
	v_add_f32_e32 v7, v7, v9
	v_cndmask_b32_e64 v9, -v16, v16, s[8:9]
	s_waitcnt lgkmcnt(1)
	v_add_f32_e32 v8, v9, v8
	;; [unrolled: 3-line block ×3, first 2 shown]
	v_lshrrev_b32_e32 v10, 6, v0
	v_and_b32_e32 v11, 3, v0
	v_lshrrev_b32_e32 v14, 2, v0
	v_xor_b32_e32 v0, v10, v0
	v_lshl_or_b32 v10, v11, 6, v14
	v_xor_b32_e32 v10, v10, v11
	v_lshl_add_u32 v0, v0, 4, 0
	v_lshl_add_u32 v10, v10, 4, 0
	s_barrier
	ds_write_b128 v0, v[2:5]
	ds_write_b128 v0, v[6:9] offset:4096
	s_waitcnt lgkmcnt(0)
	s_barrier
	ds_read_b128 v[2:5], v10
	ds_read_b128 v[6:9], v10 offset:4096
	s_waitcnt lgkmcnt(0)
	s_barrier
	ds_bpermute_b32 v11, v12, v2
	v_cndmask_b32_e64 v2, -v2, v2, s[0:1]
	ds_bpermute_b32 v14, v12, v3
	v_cndmask_b32_e64 v3, -v3, v3, s[0:1]
	s_waitcnt lgkmcnt(1)
	v_add_f32_e32 v2, v2, v11
	ds_bpermute_b32 v11, v12, v4
	v_cndmask_b32_e64 v4, -v4, v4, s[0:1]
	s_waitcnt lgkmcnt(1)
	v_add_f32_e32 v3, v3, v14
	;; [unrolled: 4-line block ×5, first 2 shown]
	ds_bpermute_b32 v11, v12, v8
	v_cndmask_b32_e64 v8, -v8, v8, s[0:1]
	ds_bpermute_b32 v12, v12, v9
	v_cndmask_b32_e64 v9, -v9, v9, s[0:1]
	s_waitcnt lgkmcnt(2)
	v_add_f32_e32 v7, v7, v14
	s_waitcnt lgkmcnt(1)
	v_add_f32_e32 v8, v8, v11
	ds_bpermute_b32 v11, v13, v2
	v_cndmask_b32_e64 v2, -v2, v2, s[2:3]
	s_waitcnt lgkmcnt(1)
	v_add_f32_e32 v9, v9, v12
	ds_bpermute_b32 v12, v13, v3
	v_cndmask_b32_e64 v3, -v3, v3, s[2:3]
	;; [unrolled: 4-line block ×6, first 2 shown]
	s_waitcnt lgkmcnt(1)
	v_add_f32_e32 v6, v6, v11
	ds_bpermute_b32 v11, v13, v8
	ds_bpermute_b32 v13, v13, v9
	v_cndmask_b32_e64 v8, -v8, v8, s[2:3]
	v_cndmask_b32_e64 v9, -v9, v9, s[2:3]
	s_waitcnt lgkmcnt(2)
	v_add_f32_e32 v7, v7, v12
	s_waitcnt lgkmcnt(1)
	v_add_f32_e32 v8, v8, v11
	;; [unrolled: 2-line block ×3, first 2 shown]
	ds_write_b128 v10, v[2:5]
	ds_write_b128 v10, v[6:9] offset:4096
	s_waitcnt lgkmcnt(0)
	s_barrier
	s_and_saveexec_b64 s[0:1], vcc
	s_cbranch_execz .LBB21_4
; %bb.3:
	s_load_dwordx2 s[0:1], s[4:5], 0x18
	s_load_dwordx2 s[2:3], s[4:5], 0x30
	s_load_dword s8, s[4:5], 0x20
	ds_read_b128 v[2:5], v0 offset:4096
	ds_read_b128 v[6:9], v0
	s_waitcnt lgkmcnt(0)
	s_mul_i32 s4, s0, s7
	s_mul_hi_u32 s5, s0, s6
	s_mul_i32 s1, s1, s6
	s_add_i32 s4, s5, s4
	s_add_i32 s1, s4, s1
	s_mul_i32 s0, s0, s6
	s_lshl_b64 s[0:1], s[0:1], 1
	s_add_u32 s0, s2, s0
	v_fma_mixlo_f16 v13, s8, v4, 0
	v_fma_mixlo_f16 v12, s8, v2, 0
	;; [unrolled: 1-line block ×4, first 2 shown]
	s_addc_u32 s1, s3, s1
	v_fma_mixhi_f16 v13, s8, v5, 0
	v_fma_mixhi_f16 v12, s8, v3, 0
	;; [unrolled: 1-line block ×4, first 2 shown]
	global_store_dwordx4 v1, v[10:13], s[0:1]
.LBB21_4:
	s_endpgm
	.section	.rodata,"a",@progbits
	.p2align	6, 0x0
	.amdhsa_kernel _Z30fast_hadamard_transform_kernelI37fast_hadamard_transform_kernel_traitsILi256ELi11E6__halfEEv18HadamardParamsBase
		.amdhsa_group_segment_fixed_size 0
		.amdhsa_private_segment_fixed_size 0
		.amdhsa_kernarg_size 56
		.amdhsa_user_sgpr_count 6
		.amdhsa_user_sgpr_private_segment_buffer 1
		.amdhsa_user_sgpr_dispatch_ptr 0
		.amdhsa_user_sgpr_queue_ptr 0
		.amdhsa_user_sgpr_kernarg_segment_ptr 1
		.amdhsa_user_sgpr_dispatch_id 0
		.amdhsa_user_sgpr_flat_scratch_init 0
		.amdhsa_user_sgpr_private_segment_size 0
		.amdhsa_uses_dynamic_stack 0
		.amdhsa_system_sgpr_private_segment_wavefront_offset 0
		.amdhsa_system_sgpr_workgroup_id_x 1
		.amdhsa_system_sgpr_workgroup_id_y 0
		.amdhsa_system_sgpr_workgroup_id_z 0
		.amdhsa_system_sgpr_workgroup_info 0
		.amdhsa_system_vgpr_workitem_id 0
		.amdhsa_next_free_vgpr 18
		.amdhsa_next_free_sgpr 12
		.amdhsa_reserve_vcc 1
		.amdhsa_reserve_flat_scratch 0
		.amdhsa_float_round_mode_32 0
		.amdhsa_float_round_mode_16_64 0
		.amdhsa_float_denorm_mode_32 3
		.amdhsa_float_denorm_mode_16_64 3
		.amdhsa_dx10_clamp 1
		.amdhsa_ieee_mode 1
		.amdhsa_fp16_overflow 0
		.amdhsa_exception_fp_ieee_invalid_op 0
		.amdhsa_exception_fp_denorm_src 0
		.amdhsa_exception_fp_ieee_div_zero 0
		.amdhsa_exception_fp_ieee_overflow 0
		.amdhsa_exception_fp_ieee_underflow 0
		.amdhsa_exception_fp_ieee_inexact 0
		.amdhsa_exception_int_div_zero 0
	.end_amdhsa_kernel
	.section	.text._Z30fast_hadamard_transform_kernelI37fast_hadamard_transform_kernel_traitsILi256ELi11E6__halfEEv18HadamardParamsBase,"axG",@progbits,_Z30fast_hadamard_transform_kernelI37fast_hadamard_transform_kernel_traitsILi256ELi11E6__halfEEv18HadamardParamsBase,comdat
.Lfunc_end21:
	.size	_Z30fast_hadamard_transform_kernelI37fast_hadamard_transform_kernel_traitsILi256ELi11E6__halfEEv18HadamardParamsBase, .Lfunc_end21-_Z30fast_hadamard_transform_kernelI37fast_hadamard_transform_kernel_traitsILi256ELi11E6__halfEEv18HadamardParamsBase
                                        ; -- End function
	.set _Z30fast_hadamard_transform_kernelI37fast_hadamard_transform_kernel_traitsILi256ELi11E6__halfEEv18HadamardParamsBase.num_vgpr, 18
	.set _Z30fast_hadamard_transform_kernelI37fast_hadamard_transform_kernel_traitsILi256ELi11E6__halfEEv18HadamardParamsBase.num_agpr, 0
	.set _Z30fast_hadamard_transform_kernelI37fast_hadamard_transform_kernel_traitsILi256ELi11E6__halfEEv18HadamardParamsBase.numbered_sgpr, 12
	.set _Z30fast_hadamard_transform_kernelI37fast_hadamard_transform_kernel_traitsILi256ELi11E6__halfEEv18HadamardParamsBase.num_named_barrier, 0
	.set _Z30fast_hadamard_transform_kernelI37fast_hadamard_transform_kernel_traitsILi256ELi11E6__halfEEv18HadamardParamsBase.private_seg_size, 0
	.set _Z30fast_hadamard_transform_kernelI37fast_hadamard_transform_kernel_traitsILi256ELi11E6__halfEEv18HadamardParamsBase.uses_vcc, 1
	.set _Z30fast_hadamard_transform_kernelI37fast_hadamard_transform_kernel_traitsILi256ELi11E6__halfEEv18HadamardParamsBase.uses_flat_scratch, 0
	.set _Z30fast_hadamard_transform_kernelI37fast_hadamard_transform_kernel_traitsILi256ELi11E6__halfEEv18HadamardParamsBase.has_dyn_sized_stack, 0
	.set _Z30fast_hadamard_transform_kernelI37fast_hadamard_transform_kernel_traitsILi256ELi11E6__halfEEv18HadamardParamsBase.has_recursion, 0
	.set _Z30fast_hadamard_transform_kernelI37fast_hadamard_transform_kernel_traitsILi256ELi11E6__halfEEv18HadamardParamsBase.has_indirect_call, 0
	.section	.AMDGPU.csdata,"",@progbits
; Kernel info:
; codeLenInByte = 2304
; TotalNumSgprs: 16
; NumVgprs: 18
; ScratchSize: 0
; MemoryBound: 0
; FloatMode: 240
; IeeeMode: 1
; LDSByteSize: 0 bytes/workgroup (compile time only)
; SGPRBlocks: 1
; VGPRBlocks: 4
; NumSGPRsForWavesPerEU: 16
; NumVGPRsForWavesPerEU: 18
; Occupancy: 10
; WaveLimiterHint : 0
; COMPUTE_PGM_RSRC2:SCRATCH_EN: 0
; COMPUTE_PGM_RSRC2:USER_SGPR: 6
; COMPUTE_PGM_RSRC2:TRAP_HANDLER: 0
; COMPUTE_PGM_RSRC2:TGID_X_EN: 1
; COMPUTE_PGM_RSRC2:TGID_Y_EN: 0
; COMPUTE_PGM_RSRC2:TGID_Z_EN: 0
; COMPUTE_PGM_RSRC2:TIDIG_COMP_CNT: 0
	.section	.text._Z30fast_hadamard_transform_kernelI37fast_hadamard_transform_kernel_traitsILi256ELi12E6__halfEEv18HadamardParamsBase,"axG",@progbits,_Z30fast_hadamard_transform_kernelI37fast_hadamard_transform_kernel_traitsILi256ELi12E6__halfEEv18HadamardParamsBase,comdat
	.protected	_Z30fast_hadamard_transform_kernelI37fast_hadamard_transform_kernel_traitsILi256ELi12E6__halfEEv18HadamardParamsBase ; -- Begin function _Z30fast_hadamard_transform_kernelI37fast_hadamard_transform_kernel_traitsILi256ELi12E6__halfEEv18HadamardParamsBase
	.globl	_Z30fast_hadamard_transform_kernelI37fast_hadamard_transform_kernel_traitsILi256ELi12E6__halfEEv18HadamardParamsBase
	.p2align	8
	.type	_Z30fast_hadamard_transform_kernelI37fast_hadamard_transform_kernel_traitsILi256ELi12E6__halfEEv18HadamardParamsBase,@function
_Z30fast_hadamard_transform_kernelI37fast_hadamard_transform_kernel_traitsILi256ELi12E6__halfEEv18HadamardParamsBase: ; @_Z30fast_hadamard_transform_kernelI37fast_hadamard_transform_kernel_traitsILi256ELi12E6__halfEEv18HadamardParamsBase
; %bb.0:
	s_load_dwordx4 s[16:19], s[4:5], 0x10
	s_load_dword s8, s[4:5], 0x4
	s_load_dwordx4 s[12:15], s[4:5], 0x28
	s_ashr_i32 s7, s6, 31
	s_load_dword s9, s[4:5], 0x44
	s_waitcnt lgkmcnt(0)
	s_mul_hi_u32 s0, s16, s6
	s_mul_i32 s1, s16, s7
	s_add_i32 s0, s0, s1
	s_mul_i32 s1, s17, s6
	s_add_i32 s1, s0, s1
	s_mul_i32 s0, s16, s6
	s_lshl_b64 s[0:1], s[0:1], 1
	s_add_u32 s2, s12, s0
	v_lshlrev_b32_e32 v1, 3, v0
	s_addc_u32 s3, s13, s1
	v_cmp_gt_u32_e32 vcc, s8, v1
	v_mov_b32_e32 v1, 0
	v_lshlrev_b32_e32 v17, 4, v0
	v_mov_b32_e32 v2, 0
	v_mov_b32_e32 v3, 0
	;; [unrolled: 1-line block ×8, first 2 shown]
	s_and_saveexec_b64 s[0:1], vcc
	s_cbranch_execz .LBB22_2
; %bb.1:
	global_load_dwordx4 v[10:13], v17, s[2:3]
	s_waitcnt vmcnt(0)
	v_cvt_f32_f16_e32 v9, v10
	v_cvt_f32_f16_sdwa v8, v10 dst_sel:DWORD dst_unused:UNUSED_PAD src0_sel:WORD_1
	v_cvt_f32_f16_e32 v7, v11
	v_cvt_f32_f16_sdwa v6, v11 dst_sel:DWORD dst_unused:UNUSED_PAD src0_sel:WORD_1
	;; [unrolled: 2-line block ×4, first 2 shown]
.LBB22_2:
	s_or_b64 exec, exec, s[0:1]
	s_and_b32 s0, 0xffff, s9
	v_add_u32_e32 v10, s0, v0
	v_lshlrev_b32_e32 v11, 3, v10
	v_cmp_gt_u32_e64 s[0:1], s8, v11
	v_lshlrev_b32_e32 v18, 4, v10
	v_mov_b32_e32 v10, 0
	v_mov_b32_e32 v11, 0
	;; [unrolled: 1-line block ×7, first 2 shown]
	s_and_saveexec_b64 s[8:9], s[0:1]
	s_cbranch_execz .LBB22_4
; %bb.3:
	global_load_dwordx4 v[19:22], v18, s[2:3]
	s_waitcnt vmcnt(0)
	v_cvt_f32_f16_e32 v16, v19
	v_cvt_f32_f16_sdwa v15, v19 dst_sel:DWORD dst_unused:UNUSED_PAD src0_sel:WORD_1
	v_cvt_f32_f16_e32 v14, v20
	v_cvt_f32_f16_sdwa v13, v20 dst_sel:DWORD dst_unused:UNUSED_PAD src0_sel:WORD_1
	;; [unrolled: 2-line block ×4, first 2 shown]
.LBB22_4:
	s_or_b64 exec, exec, s[8:9]
	v_add_f32_e32 v19, v8, v9
	v_sub_f32_e32 v8, v9, v8
	v_add_f32_e32 v9, v15, v16
	v_sub_f32_e32 v15, v16, v15
	;; [unrolled: 2-line block ×17, first 2 shown]
	v_mbcnt_lo_u32_b32 v1, -1, 0
	v_mbcnt_hi_u32_b32 v1, -1, v1
	v_add_f32_e32 v11, v15, v10
	v_sub_f32_e32 v10, v10, v15
	v_add_f32_e32 v15, v14, v19
	v_sub_f32_e32 v14, v19, v14
	;; [unrolled: 2-line block ×7, first 2 shown]
	v_and_b32_e32 v2, 64, v1
	v_and_b32_e32 v19, 1, v0
	v_add_u32_e32 v2, 64, v2
	v_cmp_eq_u32_e64 s[2:3], 0, v19
	v_xor_b32_e32 v19, 1, v1
	s_load_dword s12, s[4:5], 0x20
	v_cmp_lt_i32_e64 s[4:5], v19, v2
	v_cndmask_b32_e64 v19, v1, v19, s[4:5]
	v_lshlrev_b32_e32 v19, 2, v19
	ds_bpermute_b32 v22, v19, v11
	v_cndmask_b32_e64 v11, -v11, v11, s[2:3]
	s_waitcnt lgkmcnt(0)
	s_barrier
	v_add_f32_e32 v11, v11, v22
	ds_bpermute_b32 v22, v19, v20
	v_cndmask_b32_e64 v20, -v20, v20, s[2:3]
	s_waitcnt lgkmcnt(0)
	v_add_f32_e32 v22, v20, v22
	ds_bpermute_b32 v20, v19, v8
	v_cndmask_b32_e64 v8, -v8, v8, s[2:3]
	s_waitcnt lgkmcnt(0)
	v_add_f32_e32 v8, v8, v20
	ds_bpermute_b32 v20, v19, v7
	v_cndmask_b32_e64 v7, -v7, v7, s[2:3]
	s_waitcnt lgkmcnt(0)
	v_add_f32_e32 v7, v7, v20
	ds_bpermute_b32 v20, v19, v10
	v_cndmask_b32_e64 v10, -v10, v10, s[2:3]
	s_waitcnt lgkmcnt(0)
	v_add_f32_e32 v10, v10, v20
	ds_bpermute_b32 v20, v19, v5
	v_cndmask_b32_e64 v5, -v5, v5, s[2:3]
	s_waitcnt lgkmcnt(0)
	v_add_f32_e32 v5, v5, v20
	ds_bpermute_b32 v20, v19, v12
	v_cndmask_b32_e64 v12, -v12, v12, s[2:3]
	s_waitcnt lgkmcnt(0)
	v_add_f32_e32 v12, v12, v20
	ds_bpermute_b32 v20, v19, v6
	v_cndmask_b32_e64 v6, -v6, v6, s[2:3]
	s_waitcnt lgkmcnt(0)
	v_add_f32_e32 v6, v6, v20
	ds_bpermute_b32 v20, v19, v15
	v_cndmask_b32_e64 v15, -v15, v15, s[2:3]
	s_waitcnt lgkmcnt(0)
	v_add_f32_e32 v15, v15, v20
	ds_bpermute_b32 v20, v19, v9
	v_cndmask_b32_e64 v9, -v9, v9, s[2:3]
	s_waitcnt lgkmcnt(0)
	v_add_f32_e32 v9, v9, v20
	ds_bpermute_b32 v20, v19, v16
	v_cndmask_b32_e64 v16, -v16, v16, s[2:3]
	s_waitcnt lgkmcnt(0)
	v_add_f32_e32 v16, v16, v20
	ds_bpermute_b32 v20, v19, v21
	v_cndmask_b32_e64 v21, -v21, v21, s[2:3]
	s_waitcnt lgkmcnt(0)
	v_add_f32_e32 v21, v21, v20
	ds_bpermute_b32 v20, v19, v14
	v_cndmask_b32_e64 v14, -v14, v14, s[2:3]
	s_waitcnt lgkmcnt(0)
	v_add_f32_e32 v14, v14, v20
	ds_bpermute_b32 v20, v19, v4
	v_cndmask_b32_e64 v4, -v4, v4, s[2:3]
	s_waitcnt lgkmcnt(0)
	v_add_f32_e32 v4, v4, v20
	ds_bpermute_b32 v20, v19, v3
	v_cndmask_b32_e64 v3, -v3, v3, s[2:3]
	s_waitcnt lgkmcnt(0)
	v_add_f32_e32 v3, v3, v20
	ds_bpermute_b32 v20, v19, v13
	v_cndmask_b32_e64 v13, -v13, v13, s[2:3]
	s_waitcnt lgkmcnt(0)
	v_add_f32_e32 v13, v13, v20
	v_and_b32_e32 v20, 2, v0
	v_cmp_eq_u32_e64 s[4:5], 0, v20
	v_xor_b32_e32 v20, 2, v1
	v_cmp_lt_i32_e64 s[8:9], v20, v2
	v_cndmask_b32_e64 v20, v1, v20, s[8:9]
	v_lshlrev_b32_e32 v20, 2, v20
	ds_bpermute_b32 v23, v20, v11
	v_cndmask_b32_e64 v11, -v11, v11, s[4:5]
	s_waitcnt lgkmcnt(0)
	v_add_f32_e32 v11, v11, v23
	ds_bpermute_b32 v23, v20, v22
	v_cndmask_b32_e64 v22, -v22, v22, s[4:5]
	s_waitcnt lgkmcnt(0)
	v_add_f32_e32 v22, v22, v23
	;; [unrolled: 4-line block ×16, first 2 shown]
	v_and_b32_e32 v23, 4, v0
	v_cmp_eq_u32_e64 s[8:9], 0, v23
	v_xor_b32_e32 v23, 4, v1
	v_cmp_lt_i32_e64 s[10:11], v23, v2
	v_cndmask_b32_e64 v23, v1, v23, s[10:11]
	v_lshlrev_b32_e32 v23, 2, v23
	ds_bpermute_b32 v24, v23, v11
	v_cndmask_b32_e64 v11, -v11, v11, s[8:9]
	s_waitcnt lgkmcnt(0)
	v_add_f32_e32 v11, v11, v24
	ds_bpermute_b32 v24, v23, v22
	v_cndmask_b32_e64 v22, -v22, v22, s[8:9]
	s_waitcnt lgkmcnt(0)
	v_add_f32_e32 v22, v22, v24
	;; [unrolled: 4-line block ×14, first 2 shown]
	ds_bpermute_b32 v24, v23, v3
	ds_bpermute_b32 v23, v23, v13
	v_cndmask_b32_e64 v13, -v13, v13, s[8:9]
	v_cndmask_b32_e64 v3, -v3, v3, s[8:9]
	s_waitcnt lgkmcnt(1)
	v_add_f32_e32 v3, v3, v24
	s_waitcnt lgkmcnt(0)
	v_add_f32_e32 v13, v13, v23
	v_and_b32_e32 v23, 8, v0
	v_cmp_eq_u32_e64 s[8:9], 0, v23
	v_xor_b32_e32 v23, 8, v1
	v_cmp_lt_i32_e64 s[10:11], v23, v2
	v_cndmask_b32_e64 v23, v1, v23, s[10:11]
	v_lshlrev_b32_e32 v23, 2, v23
	ds_bpermute_b32 v24, v23, v11
	v_cndmask_b32_e64 v11, -v11, v11, s[8:9]
	s_waitcnt lgkmcnt(0)
	v_add_f32_e32 v11, v11, v24
	ds_bpermute_b32 v24, v23, v22
	v_cndmask_b32_e64 v22, -v22, v22, s[8:9]
	s_waitcnt lgkmcnt(0)
	v_add_f32_e32 v22, v22, v24
	;; [unrolled: 4-line block ×14, first 2 shown]
	ds_bpermute_b32 v24, v23, v3
	ds_bpermute_b32 v23, v23, v13
	v_cndmask_b32_e64 v13, -v13, v13, s[8:9]
	v_cndmask_b32_e64 v3, -v3, v3, s[8:9]
	s_waitcnt lgkmcnt(1)
	v_add_f32_e32 v3, v3, v24
	s_waitcnt lgkmcnt(0)
	v_add_f32_e32 v13, v13, v23
	v_and_b32_e32 v23, 16, v0
	v_cmp_eq_u32_e64 s[8:9], 0, v23
	v_xor_b32_e32 v23, 16, v1
	v_cmp_lt_i32_e64 s[10:11], v23, v2
	v_cndmask_b32_e64 v23, v1, v23, s[10:11]
	v_lshlrev_b32_e32 v23, 2, v23
	ds_bpermute_b32 v24, v23, v11
	v_cndmask_b32_e64 v11, -v11, v11, s[8:9]
	s_waitcnt lgkmcnt(0)
	v_add_f32_e32 v11, v11, v24
	ds_bpermute_b32 v24, v23, v22
	v_cndmask_b32_e64 v22, -v22, v22, s[8:9]
	s_waitcnt lgkmcnt(0)
	v_add_f32_e32 v22, v22, v24
	;; [unrolled: 4-line block ×16, first 2 shown]
	v_and_b32_e32 v3, 32, v0
	v_cmp_eq_u32_e64 s[8:9], 0, v3
	v_xor_b32_e32 v3, 32, v1
	v_cmp_lt_i32_e64 s[10:11], v3, v2
	v_cndmask_b32_e64 v1, v1, v3, s[10:11]
	v_lshlrev_b32_e32 v32, 2, v1
	ds_bpermute_b32 v1, v32, v11
	v_cndmask_b32_e64 v2, -v11, v11, s[8:9]
	v_cndmask_b32_e64 v3, -v9, v9, s[8:9]
	;; [unrolled: 1-line block ×4, first 2 shown]
	s_waitcnt lgkmcnt(0)
	v_add_f32_e32 v5, v2, v1
	ds_bpermute_b32 v1, v32, v22
	v_cndmask_b32_e64 v2, -v22, v22, s[8:9]
	v_and_b32_e32 v22, 3, v0
	s_waitcnt lgkmcnt(0)
	v_add_f32_e32 v6, v2, v1
	ds_bpermute_b32 v1, v32, v8
	v_cndmask_b32_e64 v2, -v8, v8, s[8:9]
	s_waitcnt lgkmcnt(0)
	v_add_f32_e32 v7, v2, v1
	ds_bpermute_b32 v1, v32, v24
	v_cndmask_b32_e64 v2, -v24, v24, s[8:9]
	;; [unrolled: 4-line block ×3, first 2 shown]
	v_cndmask_b32_e64 v10, -v29, v29, s[8:9]
	s_waitcnt lgkmcnt(0)
	v_add_f32_e32 v13, v2, v1
	ds_bpermute_b32 v1, v32, v25
	v_cndmask_b32_e64 v2, -v25, v25, s[8:9]
	s_waitcnt lgkmcnt(0)
	v_add_f32_e32 v14, v2, v1
	ds_bpermute_b32 v1, v32, v12
	v_cndmask_b32_e64 v2, -v12, v12, s[8:9]
	v_cndmask_b32_e64 v12, -v31, v31, s[8:9]
	s_waitcnt lgkmcnt(0)
	v_add_f32_e32 v15, v2, v1
	ds_bpermute_b32 v1, v32, v26
	v_cndmask_b32_e64 v2, -v26, v26, s[8:9]
	s_waitcnt lgkmcnt(0)
	v_add_f32_e32 v16, v2, v1
	ds_bpermute_b32 v1, v32, v27
	;; [unrolled: 4-line block ×4, first 2 shown]
	s_waitcnt lgkmcnt(0)
	v_add_f32_e32 v3, v4, v3
	ds_bpermute_b32 v4, v32, v21
	v_cndmask_b32_e64 v21, -v23, v23, s[8:9]
	s_waitcnt lgkmcnt(0)
	v_add_f32_e32 v4, v9, v4
	ds_bpermute_b32 v9, v32, v29
	s_waitcnt lgkmcnt(0)
	v_add_f32_e32 v9, v10, v9
	ds_bpermute_b32 v10, v32, v30
	;; [unrolled: 3-line block ×4, first 2 shown]
	v_lshrrev_b32_e32 v23, 2, v0
	s_waitcnt lgkmcnt(0)
	v_add_f32_e32 v12, v21, v12
	v_lshrrev_b32_e32 v21, 6, v0
	v_xor_b32_e32 v0, v21, v0
	v_lshl_add_u32 v21, v0, 4, 0
	v_lshl_or_b32 v0, v22, 6, v23
	v_xor_b32_e32 v0, v0, v22
	ds_write_b128 v21, v[5:8]
	ds_write_b128 v21, v[13:16] offset:4096
	ds_write_b128 v21, v[1:4] offset:8192
	;; [unrolled: 1-line block ×3, first 2 shown]
	v_lshl_add_u32 v16, v0, 4, 0
	s_waitcnt lgkmcnt(0)
	s_barrier
	ds_read_b128 v[0:3], v16
	ds_read_b128 v[4:7], v16 offset:4096
	ds_read_b128 v[8:11], v16 offset:8192
	;; [unrolled: 1-line block ×3, first 2 shown]
	s_waitcnt lgkmcnt(0)
	ds_bpermute_b32 v22, v19, v0
	v_cndmask_b32_e64 v0, -v0, v0, s[2:3]
	s_waitcnt lgkmcnt(0)
	s_barrier
	v_add_f32_e32 v0, v0, v22
	ds_bpermute_b32 v22, v19, v1
	v_cndmask_b32_e64 v1, -v1, v1, s[2:3]
	s_waitcnt lgkmcnt(0)
	v_add_f32_e32 v1, v1, v22
	ds_bpermute_b32 v22, v19, v2
	v_cndmask_b32_e64 v2, -v2, v2, s[2:3]
	s_waitcnt lgkmcnt(0)
	;; [unrolled: 4-line block ×13, first 2 shown]
	v_add_f32_e32 v13, v13, v22
	ds_bpermute_b32 v22, v19, v14
	ds_bpermute_b32 v19, v19, v15
	v_cndmask_b32_e64 v15, -v15, v15, s[2:3]
	v_cndmask_b32_e64 v14, -v14, v14, s[2:3]
	s_mul_i32 s2, s18, s7
	s_waitcnt lgkmcnt(1)
	v_add_f32_e32 v14, v14, v22
	s_waitcnt lgkmcnt(0)
	v_add_f32_e32 v15, v15, v19
	ds_bpermute_b32 v19, v20, v0
	v_cndmask_b32_e64 v0, -v0, v0, s[4:5]
	s_mul_hi_u32 s3, s18, s6
	s_add_i32 s2, s3, s2
	s_mul_i32 s3, s19, s6
	s_waitcnt lgkmcnt(0)
	v_add_f32_e32 v0, v0, v19
	ds_bpermute_b32 v19, v20, v1
	v_cndmask_b32_e64 v1, -v1, v1, s[4:5]
	s_add_i32 s3, s2, s3
	s_mul_i32 s2, s18, s6
	s_lshl_b64 s[2:3], s[2:3], 1
	s_waitcnt lgkmcnt(0)
	v_add_f32_e32 v1, v1, v19
	ds_bpermute_b32 v19, v20, v2
	v_cndmask_b32_e64 v2, -v2, v2, s[4:5]
	s_add_u32 s2, s14, s2
	s_addc_u32 s3, s15, s3
	s_waitcnt lgkmcnt(0)
	v_add_f32_e32 v2, v2, v19
	ds_bpermute_b32 v19, v20, v3
	v_cndmask_b32_e64 v3, -v3, v3, s[4:5]
	s_waitcnt lgkmcnt(0)
	v_add_f32_e32 v3, v3, v19
	ds_bpermute_b32 v19, v20, v4
	v_cndmask_b32_e64 v4, -v4, v4, s[4:5]
	s_waitcnt lgkmcnt(0)
	v_add_f32_e32 v4, v4, v19
	ds_bpermute_b32 v19, v20, v5
	v_cndmask_b32_e64 v5, -v5, v5, s[4:5]
	s_waitcnt lgkmcnt(0)
	v_add_f32_e32 v5, v5, v19
	ds_bpermute_b32 v19, v20, v6
	v_cndmask_b32_e64 v6, -v6, v6, s[4:5]
	s_waitcnt lgkmcnt(0)
	v_add_f32_e32 v6, v6, v19
	ds_bpermute_b32 v19, v20, v7
	v_cndmask_b32_e64 v7, -v7, v7, s[4:5]
	s_waitcnt lgkmcnt(0)
	v_add_f32_e32 v7, v7, v19
	ds_bpermute_b32 v19, v20, v8
	v_cndmask_b32_e64 v8, -v8, v8, s[4:5]
	s_waitcnt lgkmcnt(0)
	v_add_f32_e32 v8, v8, v19
	ds_bpermute_b32 v19, v20, v9
	v_cndmask_b32_e64 v9, -v9, v9, s[4:5]
	s_waitcnt lgkmcnt(0)
	v_add_f32_e32 v9, v9, v19
	ds_bpermute_b32 v19, v20, v10
	v_cndmask_b32_e64 v10, -v10, v10, s[4:5]
	s_waitcnt lgkmcnt(0)
	v_add_f32_e32 v10, v10, v19
	ds_bpermute_b32 v19, v20, v11
	v_cndmask_b32_e64 v11, -v11, v11, s[4:5]
	s_waitcnt lgkmcnt(0)
	v_add_f32_e32 v11, v11, v19
	ds_bpermute_b32 v19, v20, v12
	v_cndmask_b32_e64 v12, -v12, v12, s[4:5]
	s_waitcnt lgkmcnt(0)
	v_add_f32_e32 v12, v12, v19
	ds_bpermute_b32 v19, v20, v13
	v_cndmask_b32_e64 v13, -v13, v13, s[4:5]
	s_waitcnt lgkmcnt(0)
	v_add_f32_e32 v13, v13, v19
	ds_bpermute_b32 v19, v20, v14
	v_cndmask_b32_e64 v14, -v14, v14, s[4:5]
	s_waitcnt lgkmcnt(0)
	v_add_f32_e32 v14, v14, v19
	ds_bpermute_b32 v19, v20, v15
	v_cndmask_b32_e64 v15, -v15, v15, s[4:5]
	s_waitcnt lgkmcnt(0)
	v_add_f32_e32 v15, v15, v19
	ds_write_b128 v16, v[0:3]
	ds_write_b128 v16, v[4:7] offset:4096
	ds_write_b128 v16, v[8:11] offset:8192
	;; [unrolled: 1-line block ×3, first 2 shown]
	s_waitcnt lgkmcnt(0)
	s_barrier
	ds_read_b128 v[4:7], v21
	ds_read_b128 v[8:11], v21 offset:8192
	ds_read_b128 v[0:3], v21 offset:4096
	;; [unrolled: 1-line block ×3, first 2 shown]
	s_and_saveexec_b64 s[4:5], vcc
	s_cbranch_execnz .LBB22_7
; %bb.5:
	s_or_b64 exec, exec, s[4:5]
	s_and_saveexec_b64 s[4:5], s[0:1]
	s_cbranch_execnz .LBB22_8
.LBB22_6:
	s_endpgm
.LBB22_7:
	s_waitcnt lgkmcnt(0)
	v_add_f32_e32 v19, v2, v14
	v_add_f32_e32 v20, v0, v12
	v_fma_mixlo_f16 v22, s12, v19, 0
	v_add_f32_e32 v19, v6, v10
	v_add_f32_e32 v16, v3, v15
	v_fma_mixlo_f16 v21, s12, v20, 0
	v_fma_mixlo_f16 v20, s12, v19, 0
	v_add_f32_e32 v19, v4, v8
	v_add_f32_e32 v23, v1, v13
	v_fma_mixlo_f16 v19, s12, v19, 0
	v_add_f32_e32 v24, v7, v11
	v_fma_mixhi_f16 v22, s12, v16, 0
	v_add_f32_e32 v16, v5, v9
	v_fma_mixhi_f16 v21, s12, v23, 0
	v_fma_mixhi_f16 v20, s12, v24, 0
	v_fma_mixhi_f16 v19, s12, v16, 0
	global_store_dwordx4 v17, v[19:22], s[2:3]
	s_or_b64 exec, exec, s[4:5]
	s_and_saveexec_b64 s[4:5], s[0:1]
	s_cbranch_execz .LBB22_6
.LBB22_8:
	s_waitcnt lgkmcnt(2)
	v_sub_f32_e32 v9, v5, v9
	v_sub_f32_e32 v4, v4, v8
	;; [unrolled: 1-line block ×3, first 2 shown]
	s_waitcnt lgkmcnt(0)
	v_sub_f32_e32 v0, v0, v12
	v_sub_f32_e32 v2, v2, v14
	v_fma_mixlo_f16 v4, s12, v4, 0
	v_sub_f32_e32 v8, v7, v11
	v_fma_mixlo_f16 v5, s12, v5, 0
	;; [unrolled: 2-line block ×4, first 2 shown]
	v_fma_mixhi_f16 v7, s12, v0, 0
	v_fma_mixhi_f16 v6, s12, v1, 0
	;; [unrolled: 1-line block ×4, first 2 shown]
	global_store_dwordx4 v18, v[4:7], s[2:3]
	s_endpgm
	.section	.rodata,"a",@progbits
	.p2align	6, 0x0
	.amdhsa_kernel _Z30fast_hadamard_transform_kernelI37fast_hadamard_transform_kernel_traitsILi256ELi12E6__halfEEv18HadamardParamsBase
		.amdhsa_group_segment_fixed_size 0
		.amdhsa_private_segment_fixed_size 0
		.amdhsa_kernarg_size 312
		.amdhsa_user_sgpr_count 6
		.amdhsa_user_sgpr_private_segment_buffer 1
		.amdhsa_user_sgpr_dispatch_ptr 0
		.amdhsa_user_sgpr_queue_ptr 0
		.amdhsa_user_sgpr_kernarg_segment_ptr 1
		.amdhsa_user_sgpr_dispatch_id 0
		.amdhsa_user_sgpr_flat_scratch_init 0
		.amdhsa_user_sgpr_private_segment_size 0
		.amdhsa_uses_dynamic_stack 0
		.amdhsa_system_sgpr_private_segment_wavefront_offset 0
		.amdhsa_system_sgpr_workgroup_id_x 1
		.amdhsa_system_sgpr_workgroup_id_y 0
		.amdhsa_system_sgpr_workgroup_id_z 0
		.amdhsa_system_sgpr_workgroup_info 0
		.amdhsa_system_vgpr_workitem_id 0
		.amdhsa_next_free_vgpr 33
		.amdhsa_next_free_sgpr 20
		.amdhsa_reserve_vcc 1
		.amdhsa_reserve_flat_scratch 0
		.amdhsa_float_round_mode_32 0
		.amdhsa_float_round_mode_16_64 0
		.amdhsa_float_denorm_mode_32 3
		.amdhsa_float_denorm_mode_16_64 3
		.amdhsa_dx10_clamp 1
		.amdhsa_ieee_mode 1
		.amdhsa_fp16_overflow 0
		.amdhsa_exception_fp_ieee_invalid_op 0
		.amdhsa_exception_fp_denorm_src 0
		.amdhsa_exception_fp_ieee_div_zero 0
		.amdhsa_exception_fp_ieee_overflow 0
		.amdhsa_exception_fp_ieee_underflow 0
		.amdhsa_exception_fp_ieee_inexact 0
		.amdhsa_exception_int_div_zero 0
	.end_amdhsa_kernel
	.section	.text._Z30fast_hadamard_transform_kernelI37fast_hadamard_transform_kernel_traitsILi256ELi12E6__halfEEv18HadamardParamsBase,"axG",@progbits,_Z30fast_hadamard_transform_kernelI37fast_hadamard_transform_kernel_traitsILi256ELi12E6__halfEEv18HadamardParamsBase,comdat
.Lfunc_end22:
	.size	_Z30fast_hadamard_transform_kernelI37fast_hadamard_transform_kernel_traitsILi256ELi12E6__halfEEv18HadamardParamsBase, .Lfunc_end22-_Z30fast_hadamard_transform_kernelI37fast_hadamard_transform_kernel_traitsILi256ELi12E6__halfEEv18HadamardParamsBase
                                        ; -- End function
	.set _Z30fast_hadamard_transform_kernelI37fast_hadamard_transform_kernel_traitsILi256ELi12E6__halfEEv18HadamardParamsBase.num_vgpr, 33
	.set _Z30fast_hadamard_transform_kernelI37fast_hadamard_transform_kernel_traitsILi256ELi12E6__halfEEv18HadamardParamsBase.num_agpr, 0
	.set _Z30fast_hadamard_transform_kernelI37fast_hadamard_transform_kernel_traitsILi256ELi12E6__halfEEv18HadamardParamsBase.numbered_sgpr, 20
	.set _Z30fast_hadamard_transform_kernelI37fast_hadamard_transform_kernel_traitsILi256ELi12E6__halfEEv18HadamardParamsBase.num_named_barrier, 0
	.set _Z30fast_hadamard_transform_kernelI37fast_hadamard_transform_kernel_traitsILi256ELi12E6__halfEEv18HadamardParamsBase.private_seg_size, 0
	.set _Z30fast_hadamard_transform_kernelI37fast_hadamard_transform_kernel_traitsILi256ELi12E6__halfEEv18HadamardParamsBase.uses_vcc, 1
	.set _Z30fast_hadamard_transform_kernelI37fast_hadamard_transform_kernel_traitsILi256ELi12E6__halfEEv18HadamardParamsBase.uses_flat_scratch, 0
	.set _Z30fast_hadamard_transform_kernelI37fast_hadamard_transform_kernel_traitsILi256ELi12E6__halfEEv18HadamardParamsBase.has_dyn_sized_stack, 0
	.set _Z30fast_hadamard_transform_kernelI37fast_hadamard_transform_kernel_traitsILi256ELi12E6__halfEEv18HadamardParamsBase.has_recursion, 0
	.set _Z30fast_hadamard_transform_kernelI37fast_hadamard_transform_kernel_traitsILi256ELi12E6__halfEEv18HadamardParamsBase.has_indirect_call, 0
	.section	.AMDGPU.csdata,"",@progbits
; Kernel info:
; codeLenInByte = 4332
; TotalNumSgprs: 24
; NumVgprs: 33
; ScratchSize: 0
; MemoryBound: 0
; FloatMode: 240
; IeeeMode: 1
; LDSByteSize: 0 bytes/workgroup (compile time only)
; SGPRBlocks: 2
; VGPRBlocks: 8
; NumSGPRsForWavesPerEU: 24
; NumVGPRsForWavesPerEU: 33
; Occupancy: 7
; WaveLimiterHint : 0
; COMPUTE_PGM_RSRC2:SCRATCH_EN: 0
; COMPUTE_PGM_RSRC2:USER_SGPR: 6
; COMPUTE_PGM_RSRC2:TRAP_HANDLER: 0
; COMPUTE_PGM_RSRC2:TGID_X_EN: 1
; COMPUTE_PGM_RSRC2:TGID_Y_EN: 0
; COMPUTE_PGM_RSRC2:TGID_Z_EN: 0
; COMPUTE_PGM_RSRC2:TIDIG_COMP_CNT: 0
	.section	.text._Z30fast_hadamard_transform_kernelI37fast_hadamard_transform_kernel_traitsILi256ELi13E6__halfEEv18HadamardParamsBase,"axG",@progbits,_Z30fast_hadamard_transform_kernelI37fast_hadamard_transform_kernel_traitsILi256ELi13E6__halfEEv18HadamardParamsBase,comdat
	.protected	_Z30fast_hadamard_transform_kernelI37fast_hadamard_transform_kernel_traitsILi256ELi13E6__halfEEv18HadamardParamsBase ; -- Begin function _Z30fast_hadamard_transform_kernelI37fast_hadamard_transform_kernel_traitsILi256ELi13E6__halfEEv18HadamardParamsBase
	.globl	_Z30fast_hadamard_transform_kernelI37fast_hadamard_transform_kernel_traitsILi256ELi13E6__halfEEv18HadamardParamsBase
	.p2align	8
	.type	_Z30fast_hadamard_transform_kernelI37fast_hadamard_transform_kernel_traitsILi256ELi13E6__halfEEv18HadamardParamsBase,@function
_Z30fast_hadamard_transform_kernelI37fast_hadamard_transform_kernel_traitsILi256ELi13E6__halfEEv18HadamardParamsBase: ; @_Z30fast_hadamard_transform_kernelI37fast_hadamard_transform_kernel_traitsILi256ELi13E6__halfEEv18HadamardParamsBase
; %bb.0:
	s_load_dwordx4 s[20:23], s[4:5], 0x10
	s_load_dword s12, s[4:5], 0x4
	s_load_dwordx4 s[16:19], s[4:5], 0x28
	s_ashr_i32 s7, s6, 31
	s_load_dword s10, s[4:5], 0x44
	s_waitcnt lgkmcnt(0)
	s_mul_hi_u32 s0, s20, s6
	s_mul_i32 s1, s20, s7
	s_add_i32 s0, s0, s1
	s_mul_i32 s1, s21, s6
	s_add_i32 s1, s0, s1
	s_mul_i32 s0, s20, s6
	s_lshl_b64 s[0:1], s[0:1], 1
	s_add_u32 s8, s16, s0
	v_lshlrev_b32_e32 v1, 3, v0
	s_addc_u32 s9, s17, s1
	v_cmp_gt_u32_e64 s[0:1], s12, v1
	v_mov_b32_e32 v1, 0
	v_lshlrev_b32_e32 v33, 4, v0
	v_mov_b32_e32 v2, 0
	v_mov_b32_e32 v3, 0
	;; [unrolled: 1-line block ×8, first 2 shown]
	s_and_saveexec_b64 s[2:3], s[0:1]
	s_cbranch_execz .LBB23_2
; %bb.1:
	global_load_dwordx4 v[11:14], v33, s[8:9]
	s_waitcnt vmcnt(0)
	v_cvt_f32_f16_e32 v10, v11
	v_cvt_f32_f16_sdwa v9, v11 dst_sel:DWORD dst_unused:UNUSED_PAD src0_sel:WORD_1
	v_cvt_f32_f16_e32 v7, v12
	v_cvt_f32_f16_sdwa v6, v12 dst_sel:DWORD dst_unused:UNUSED_PAD src0_sel:WORD_1
	;; [unrolled: 2-line block ×4, first 2 shown]
.LBB23_2:
	s_or_b64 exec, exec, s[2:3]
	s_and_b32 s13, 0xffff, s10
	v_add_u32_e32 v15, s13, v0
	v_lshlrev_b32_e32 v8, 3, v15
	v_cmp_gt_u32_e32 vcc, s12, v8
	v_lshlrev_b32_e32 v32, 4, v15
	v_mov_b32_e32 v8, 0
	v_mov_b32_e32 v11, 0
	;; [unrolled: 1-line block ×7, first 2 shown]
	s_and_saveexec_b64 s[2:3], vcc
	s_cbranch_execz .LBB23_4
; %bb.3:
	global_load_dwordx4 v[20:23], v32, s[8:9]
	s_waitcnt vmcnt(0)
	v_cvt_f32_f16_e32 v19, v20
	v_cvt_f32_f16_sdwa v18, v20 dst_sel:DWORD dst_unused:UNUSED_PAD src0_sel:WORD_1
	v_cvt_f32_f16_e32 v14, v21
	v_cvt_f32_f16_sdwa v13, v21 dst_sel:DWORD dst_unused:UNUSED_PAD src0_sel:WORD_1
	;; [unrolled: 2-line block ×4, first 2 shown]
.LBB23_4:
	s_or_b64 exec, exec, s[2:3]
	v_add_u32_e32 v24, s13, v15
	v_lshlrev_b32_e32 v15, 3, v24
	v_cmp_gt_u32_e64 s[2:3], s12, v15
	v_mov_b32_e32 v15, 0
	v_lshlrev_b32_e32 v34, 4, v24
	v_mov_b32_e32 v16, 0
	v_mov_b32_e32 v17, 0
	;; [unrolled: 1-line block ×8, first 2 shown]
	s_and_saveexec_b64 s[10:11], s[2:3]
	s_cbranch_execz .LBB23_6
; %bb.5:
	global_load_dwordx4 v[27:30], v34, s[8:9]
	s_waitcnt vmcnt(0)
	v_cvt_f32_f16_e32 v26, v27
	v_cvt_f32_f16_sdwa v25, v27 dst_sel:DWORD dst_unused:UNUSED_PAD src0_sel:WORD_1
	v_cvt_f32_f16_e32 v23, v28
	v_cvt_f32_f16_sdwa v22, v28 dst_sel:DWORD dst_unused:UNUSED_PAD src0_sel:WORD_1
	;; [unrolled: 2-line block ×4, first 2 shown]
.LBB23_6:
	s_or_b64 exec, exec, s[10:11]
	v_add_u32_e32 v24, s13, v24
	v_lshlrev_b32_e32 v27, 3, v24
	v_cmp_gt_u32_e64 s[12:13], s12, v27
	v_lshlrev_b32_e32 v35, 4, v24
	v_mov_b32_e32 v24, 0
	v_mov_b32_e32 v27, 0
	;; [unrolled: 1-line block ×7, first 2 shown]
	s_and_saveexec_b64 s[10:11], s[12:13]
	s_cbranch_execz .LBB23_8
; %bb.7:
	global_load_dwordx4 v[37:40], v35, s[8:9]
	s_waitcnt vmcnt(0)
	v_cvt_f32_f16_e32 v36, v37
	v_cvt_f32_f16_sdwa v31, v37 dst_sel:DWORD dst_unused:UNUSED_PAD src0_sel:WORD_1
	v_cvt_f32_f16_e32 v30, v38
	v_cvt_f32_f16_sdwa v29, v38 dst_sel:DWORD dst_unused:UNUSED_PAD src0_sel:WORD_1
	;; [unrolled: 2-line block ×4, first 2 shown]
.LBB23_8:
	s_or_b64 exec, exec, s[10:11]
	v_add_f32_e32 v37, v9, v10
	v_sub_f32_e32 v9, v10, v9
	v_add_f32_e32 v10, v18, v19
	v_sub_f32_e32 v18, v19, v18
	;; [unrolled: 2-line block ×31, first 2 shown]
	v_mbcnt_lo_u32_b32 v1, -1, 0
	v_add_f32_e32 v11, v16, v20
	v_sub_f32_e32 v16, v20, v16
	v_add_f32_e32 v20, v15, v27
	v_mbcnt_hi_u32_b32 v1, -1, v1
	v_add_f32_e32 v38, v4, v9
	v_sub_f32_e32 v4, v9, v4
	v_add_f32_e32 v9, v11, v18
	v_sub_f32_e32 v11, v18, v11
	;; [unrolled: 2-line block ×8, first 2 shown]
	v_and_b32_e32 v2, 64, v1
	v_sub_f32_e32 v15, v27, v15
	v_add_f32_e32 v27, v31, v24
	v_sub_f32_e32 v24, v24, v31
	v_add_f32_e32 v31, v30, v37
	v_sub_f32_e32 v30, v37, v30
	v_add_f32_e32 v37, v5, v10
	v_sub_f32_e32 v5, v10, v5
	v_add_f32_e32 v10, v12, v19
	v_sub_f32_e32 v12, v19, v12
	v_add_f32_e32 v19, v21, v26
	v_sub_f32_e32 v26, v26, v21
	v_add_u32_e32 v2, 64, v2
	v_xor_b32_e32 v21, 1, v1
	s_load_dword s16, s[4:5], 0x20
	v_cmp_lt_i32_e64 s[4:5], v21, v2
	v_cndmask_b32_e64 v21, v1, v21, s[4:5]
	v_lshlrev_b32_e32 v21, 2, v21
	v_add_f32_e32 v40, v16, v22
	v_sub_f32_e32 v16, v22, v16
	v_add_f32_e32 v22, v15, v29
	v_sub_f32_e32 v15, v29, v15
	ds_bpermute_b32 v29, v21, v27
	v_and_b32_e32 v41, 1, v0
	v_cmp_eq_u32_e64 s[14:15], 0, v41
	v_cndmask_b32_e64 v27, -v27, v27, s[14:15]
	ds_bpermute_b32 v41, v21, v23
	s_waitcnt lgkmcnt(0)
	v_add_f32_e32 v27, v27, v29
	ds_bpermute_b32 v29, v21, v25
	v_cndmask_b32_e64 v25, -v25, v25, s[14:15]
	v_cndmask_b32_e64 v23, -v23, v23, s[14:15]
	v_add_f32_e32 v23, v23, v41
	ds_bpermute_b32 v41, v21, v26
	s_waitcnt lgkmcnt(1)
	v_add_f32_e32 v25, v25, v29
	ds_bpermute_b32 v29, v21, v24
	v_cndmask_b32_e64 v24, -v24, v24, s[14:15]
	v_cndmask_b32_e64 v26, -v26, v26, s[14:15]
	s_waitcnt lgkmcnt(1)
	v_add_f32_e32 v26, v26, v41
	ds_bpermute_b32 v41, v21, v6
	s_waitcnt lgkmcnt(1)
	v_add_f32_e32 v24, v24, v29
	ds_bpermute_b32 v29, v21, v28
	v_cndmask_b32_e64 v28, -v28, v28, s[14:15]
	v_cndmask_b32_e64 v6, -v6, v6, s[14:15]
	s_waitcnt lgkmcnt(1)
	;; [unrolled: 8-line block ×12, first 2 shown]
	v_add_f32_e32 v41, v22, v41
	ds_bpermute_b32 v22, v21, v20
	s_waitcnt lgkmcnt(1)
	v_add_f32_e32 v14, v14, v37
	ds_bpermute_b32 v37, v21, v12
	ds_bpermute_b32 v42, v21, v19
	v_cndmask_b32_e64 v12, -v12, v12, s[14:15]
	v_cndmask_b32_e64 v20, -v20, v20, s[14:15]
	;; [unrolled: 1-line block ×3, first 2 shown]
	s_waitcnt lgkmcnt(1)
	v_add_f32_e32 v12, v12, v37
	ds_bpermute_b32 v37, v21, v17
	v_add_f32_e32 v20, v20, v22
	v_xor_b32_e32 v22, 2, v1
	s_waitcnt lgkmcnt(1)
	v_add_f32_e32 v19, v19, v42
	ds_bpermute_b32 v42, v21, v15
	v_cmp_lt_i32_e64 s[4:5], v22, v2
	v_cndmask_b32_e64 v22, v1, v22, s[4:5]
	v_cndmask_b32_e64 v17, -v17, v17, s[14:15]
	v_lshlrev_b32_e32 v22, 2, v22
	s_waitcnt lgkmcnt(1)
	v_add_f32_e32 v17, v17, v37
	ds_bpermute_b32 v37, v22, v27
	v_cndmask_b32_e64 v15, -v15, v15, s[14:15]
	s_waitcnt lgkmcnt(1)
	v_add_f32_e32 v15, v15, v42
	v_and_b32_e32 v42, 2, v0
	v_cmp_eq_u32_e64 s[8:9], 0, v42
	v_cndmask_b32_e64 v27, -v27, v27, s[8:9]
	s_waitcnt lgkmcnt(0)
	v_add_f32_e32 v27, v27, v37
	ds_bpermute_b32 v37, v22, v25
	v_cndmask_b32_e64 v25, -v25, v25, s[8:9]
	ds_bpermute_b32 v42, v22, v23
	v_cndmask_b32_e64 v23, -v23, v23, s[8:9]
	ds_bpermute_b32 v43, v22, v19
	s_waitcnt lgkmcnt(2)
	v_add_f32_e32 v25, v25, v37
	ds_bpermute_b32 v37, v22, v24
	v_cndmask_b32_e64 v24, -v24, v24, s[8:9]
	s_waitcnt lgkmcnt(2)
	v_add_f32_e32 v23, v23, v42
	ds_bpermute_b32 v42, v22, v26
	v_cndmask_b32_e64 v26, -v26, v26, s[8:9]
	;; [unrolled: 4-line block ×27, first 2 shown]
	v_add_f32_e32 v19, v19, v43
	ds_bpermute_b32 v43, v22, v15
	v_cndmask_b32_e64 v20, -v20, v20, s[8:9]
	s_waitcnt lgkmcnt(1)
	v_add_f32_e32 v17, v17, v37
	v_xor_b32_e32 v37, 4, v1
	v_cmp_lt_i32_e64 s[4:5], v37, v2
	v_cndmask_b32_e64 v37, v1, v37, s[4:5]
	v_lshlrev_b32_e32 v37, 2, v37
	v_add_f32_e32 v20, v20, v42
	ds_bpermute_b32 v42, v37, v27
	v_cndmask_b32_e64 v15, -v15, v15, s[8:9]
	s_waitcnt lgkmcnt(1)
	v_add_f32_e32 v15, v15, v43
	v_and_b32_e32 v43, 4, v0
	v_cmp_eq_u32_e64 s[4:5], 0, v43
	v_cndmask_b32_e64 v27, -v27, v27, s[4:5]
	s_waitcnt lgkmcnt(0)
	v_add_f32_e32 v27, v27, v42
	ds_bpermute_b32 v42, v37, v25
	v_cndmask_b32_e64 v25, -v25, v25, s[4:5]
	ds_bpermute_b32 v43, v37, v23
	v_cndmask_b32_e64 v23, -v23, v23, s[4:5]
	ds_bpermute_b32 v44, v37, v19
	s_waitcnt lgkmcnt(2)
	v_add_f32_e32 v25, v25, v42
	ds_bpermute_b32 v42, v37, v24
	v_cndmask_b32_e64 v24, -v24, v24, s[4:5]
	s_waitcnt lgkmcnt(2)
	v_add_f32_e32 v23, v23, v43
	ds_bpermute_b32 v43, v37, v26
	v_cndmask_b32_e64 v26, -v26, v26, s[4:5]
	;; [unrolled: 4-line block ×26, first 2 shown]
	s_waitcnt lgkmcnt(1)
	v_add_f32_e32 v12, v12, v42
	ds_bpermute_b32 v42, v37, v17
	ds_bpermute_b32 v37, v37, v15
	v_cndmask_b32_e64 v15, -v15, v15, s[4:5]
	v_cndmask_b32_e64 v20, -v20, v20, s[4:5]
	;; [unrolled: 1-line block ×3, first 2 shown]
	s_waitcnt lgkmcnt(1)
	v_add_f32_e32 v17, v17, v42
	s_waitcnt lgkmcnt(0)
	v_add_f32_e32 v15, v15, v37
	v_xor_b32_e32 v37, 8, v1
	v_cmp_lt_i32_e64 s[4:5], v37, v2
	v_cndmask_b32_e64 v37, v1, v37, s[4:5]
	v_lshlrev_b32_e32 v37, 2, v37
	ds_bpermute_b32 v42, v37, v27
	v_add_f32_e32 v20, v20, v43
	v_and_b32_e32 v43, 8, v0
	v_cmp_eq_u32_e64 s[4:5], 0, v43
	v_cndmask_b32_e64 v27, -v27, v27, s[4:5]
	s_waitcnt lgkmcnt(0)
	v_add_f32_e32 v27, v27, v42
	ds_bpermute_b32 v42, v37, v25
	ds_bpermute_b32 v43, v37, v23
	v_cndmask_b32_e64 v25, -v25, v25, s[4:5]
	v_cndmask_b32_e64 v23, -v23, v23, s[4:5]
	v_add_f32_e32 v19, v19, v44
	s_waitcnt lgkmcnt(1)
	v_add_f32_e32 v25, v25, v42
	ds_bpermute_b32 v42, v37, v24
	s_waitcnt lgkmcnt(1)
	v_add_f32_e32 v23, v23, v43
	ds_bpermute_b32 v43, v37, v26
	v_cndmask_b32_e64 v24, -v24, v24, s[4:5]
	v_cndmask_b32_e64 v26, -v26, v26, s[4:5]
	s_waitcnt lgkmcnt(1)
	v_add_f32_e32 v24, v24, v42
	ds_bpermute_b32 v42, v37, v28
	s_waitcnt lgkmcnt(1)
	v_add_f32_e32 v26, v26, v43
	ds_bpermute_b32 v43, v37, v6
	v_cndmask_b32_e64 v28, -v28, v28, s[4:5]
	v_cndmask_b32_e64 v6, -v6, v6, s[4:5]
	;; [unrolled: 8-line block ×5, first 2 shown]
	s_waitcnt lgkmcnt(1)
	v_add_f32_e32 v30, v30, v42
	ds_bpermute_b32 v42, v37, v3
	ds_bpermute_b32 v44, v37, v19
	s_waitcnt lgkmcnt(2)
	v_add_f32_e32 v4, v4, v6
	ds_bpermute_b32 v6, v37, v13
	v_cndmask_b32_e64 v3, -v3, v3, s[4:5]
	s_waitcnt lgkmcnt(2)
	v_add_f32_e32 v3, v3, v42
	ds_bpermute_b32 v42, v37, v36
	v_cndmask_b32_e64 v19, -v19, v19, s[4:5]
	v_cndmask_b32_e64 v13, -v13, v13, s[4:5]
	s_waitcnt lgkmcnt(2)
	v_add_f32_e32 v19, v19, v44
	s_waitcnt lgkmcnt(1)
	v_add_f32_e32 v44, v13, v6
	ds_bpermute_b32 v6, v37, v9
	v_cndmask_b32_e64 v13, -v36, v36, s[4:5]
	s_waitcnt lgkmcnt(1)
	v_add_f32_e32 v36, v13, v42
	ds_bpermute_b32 v13, v37, v7
	v_cndmask_b32_e64 v9, -v9, v9, s[4:5]
	;; [unrolled: 4-line block ×12, first 2 shown]
	s_waitcnt lgkmcnt(1)
	v_add_f32_e32 v41, v8, v6
	v_cndmask_b32_e64 v6, -v12, v12, s[4:5]
	ds_bpermute_b32 v8, v37, v20
	s_waitcnt lgkmcnt(1)
	v_add_f32_e32 v52, v6, v7
	ds_bpermute_b32 v6, v37, v17
	ds_bpermute_b32 v9, v37, v15
	v_cndmask_b32_e64 v7, -v20, v20, s[4:5]
	s_waitcnt lgkmcnt(2)
	v_add_f32_e32 v53, v7, v8
	v_cndmask_b32_e64 v7, -v17, v17, s[4:5]
	s_waitcnt lgkmcnt(1)
	v_add_f32_e32 v54, v7, v6
	;; [unrolled: 3-line block ×3, first 2 shown]
	v_xor_b32_e32 v6, 16, v1
	v_cmp_lt_i32_e64 s[4:5], v6, v2
	v_cndmask_b32_e64 v6, v1, v6, s[4:5]
	v_lshlrev_b32_e32 v56, 2, v6
	ds_bpermute_b32 v6, v56, v27
	v_and_b32_e32 v7, 16, v0
	v_cmp_eq_u32_e64 s[4:5], 0, v7
	ds_bpermute_b32 v8, v56, v19
	v_cndmask_b32_e64 v7, -v27, v27, s[4:5]
	s_waitcnt lgkmcnt(1)
	v_add_f32_e32 v57, v7, v6
	ds_bpermute_b32 v6, v56, v25
	v_cndmask_b32_e64 v7, -v19, v19, s[4:5]
	s_waitcnt lgkmcnt(1)
	v_add_f32_e32 v58, v7, v8
	;; [unrolled: 4-line block ×5, first 2 shown]
	ds_bpermute_b32 v8, v56, v28
	ds_bpermute_b32 v9, v56, v43
	;; [unrolled: 1-line block ×3, first 2 shown]
	v_cndmask_b32_e64 v6, -v26, v26, s[4:5]
	ds_bpermute_b32 v11, v56, v38
	s_waitcnt lgkmcnt(4)
	v_add_f32_e32 v6, v6, v7
	v_cndmask_b32_e64 v7, -v28, v28, s[4:5]
	ds_bpermute_b32 v12, v56, v31
	s_waitcnt lgkmcnt(4)
	v_add_f32_e32 v7, v7, v8
	;; [unrolled: 4-line block ×3, first 2 shown]
	v_cndmask_b32_e64 v9, -v29, v29, s[4:5]
	ds_bpermute_b32 v14, v56, v30
	ds_bpermute_b32 v15, v56, v4
	s_waitcnt lgkmcnt(5)
	v_add_f32_e32 v9, v9, v10
	v_cndmask_b32_e64 v10, -v38, v38, s[4:5]
	ds_bpermute_b32 v16, v56, v3
	s_waitcnt lgkmcnt(5)
	v_add_f32_e32 v10, v10, v11
	v_cndmask_b32_e64 v11, -v31, v31, s[4:5]
	s_waitcnt lgkmcnt(4)
	v_add_f32_e32 v11, v11, v12
	v_cndmask_b32_e64 v12, -v39, v39, s[4:5]
	;; [unrolled: 3-line block ×3, first 2 shown]
	v_cndmask_b32_e64 v4, -v4, v4, s[4:5]
	s_waitcnt lgkmcnt(2)
	v_add_f32_e32 v13, v13, v14
	s_waitcnt lgkmcnt(1)
	v_add_f32_e32 v14, v4, v15
	ds_bpermute_b32 v4, v56, v44
	v_cndmask_b32_e64 v3, -v3, v3, s[4:5]
	s_waitcnt lgkmcnt(1)
	v_add_f32_e32 v15, v3, v16
	ds_bpermute_b32 v3, v56, v36
	v_cndmask_b32_e64 v16, -v44, v44, s[4:5]
	;; [unrolled: 4-line block ×14, first 2 shown]
	s_waitcnt lgkmcnt(1)
	v_add_f32_e32 v26, v5, v4
	v_cndmask_b32_e64 v4, -v52, v52, s[4:5]
	ds_bpermute_b32 v5, v56, v53
	s_waitcnt lgkmcnt(1)
	v_add_f32_e32 v27, v4, v3
	ds_bpermute_b32 v3, v56, v54
	ds_bpermute_b32 v24, v56, v55
	v_cndmask_b32_e64 v4, -v53, v53, s[4:5]
	s_waitcnt lgkmcnt(2)
	v_add_f32_e32 v25, v4, v5
	v_cndmask_b32_e64 v4, -v54, v54, s[4:5]
	s_waitcnt lgkmcnt(1)
	v_add_f32_e32 v23, v4, v3
	;; [unrolled: 3-line block ×3, first 2 shown]
	v_xor_b32_e32 v3, 32, v1
	v_cmp_lt_i32_e64 s[4:5], v3, v2
	v_cndmask_b32_e64 v1, v1, v3, s[4:5]
	v_lshlrev_b32_e32 v30, 2, v1
	ds_bpermute_b32 v1, v30, v57
	ds_bpermute_b32 v3, v30, v58
	v_and_b32_e32 v2, 32, v0
	ds_bpermute_b32 v4, v30, v59
	v_cmp_eq_u32_e64 s[10:11], 0, v2
	ds_bpermute_b32 v5, v30, v60
	v_cndmask_b32_e64 v2, -v57, v57, s[10:11]
	ds_bpermute_b32 v40, v30, v61
	ds_bpermute_b32 v41, v30, v6
	s_waitcnt lgkmcnt(5)
	v_add_f32_e32 v1, v2, v1
	v_cndmask_b32_e64 v2, -v58, v58, s[10:11]
	s_waitcnt lgkmcnt(4)
	v_add_f32_e32 v2, v2, v3
	v_cndmask_b32_e64 v3, -v59, v59, s[10:11]
	s_waitcnt lgkmcnt(3)
	v_add_f32_e32 v3, v3, v4
	v_cndmask_b32_e64 v4, -v60, v60, s[10:11]
	s_waitcnt lgkmcnt(2)
	v_add_f32_e32 v4, v4, v5
	v_cndmask_b32_e64 v5, -v61, v61, s[10:11]
	v_cndmask_b32_e64 v6, -v6, v6, s[10:11]
	s_waitcnt lgkmcnt(1)
	v_add_f32_e32 v5, v5, v40
	ds_bpermute_b32 v40, v30, v7
	s_waitcnt lgkmcnt(1)
	v_add_f32_e32 v6, v6, v41
	ds_bpermute_b32 v41, v30, v8
	v_cndmask_b32_e64 v7, -v7, v7, s[10:11]
	v_cndmask_b32_e64 v8, -v8, v8, s[10:11]
	s_waitcnt lgkmcnt(1)
	v_add_f32_e32 v7, v7, v40
	ds_bpermute_b32 v40, v30, v9
	s_waitcnt lgkmcnt(1)
	v_add_f32_e32 v8, v8, v41
	ds_bpermute_b32 v41, v30, v10
	v_cndmask_b32_e64 v9, -v9, v9, s[10:11]
	;; [unrolled: 8-line block ×7, first 2 shown]
	v_cndmask_b32_e64 v20, -v20, v20, s[10:11]
	s_waitcnt lgkmcnt(1)
	v_add_f32_e32 v19, v19, v40
	ds_bpermute_b32 v40, v30, v39
	s_waitcnt lgkmcnt(1)
	v_add_f32_e32 v20, v20, v41
	ds_bpermute_b32 v41, v30, v38
	ds_bpermute_b32 v42, v30, v37
	v_cndmask_b32_e64 v39, -v39, v39, s[10:11]
	v_cndmask_b32_e64 v38, -v38, v38, s[10:11]
	s_waitcnt lgkmcnt(2)
	v_add_f32_e32 v39, v39, v40
	s_waitcnt lgkmcnt(1)
	v_add_f32_e32 v40, v38, v41
	ds_bpermute_b32 v38, v30, v36
	v_cndmask_b32_e64 v37, -v37, v37, s[10:11]
	s_waitcnt lgkmcnt(1)
	v_add_f32_e32 v41, v37, v42
	ds_bpermute_b32 v37, v30, v31
	v_cndmask_b32_e64 v36, -v36, v36, s[10:11]
	;; [unrolled: 4-line block ×6, first 2 shown]
	s_waitcnt lgkmcnt(1)
	v_add_f32_e32 v46, v26, v29
	v_cndmask_b32_e64 v26, -v27, v27, s[10:11]
	ds_bpermute_b32 v27, v30, v25
	s_waitcnt lgkmcnt(1)
	v_add_f32_e32 v47, v26, v28
	ds_bpermute_b32 v26, v30, v23
	ds_bpermute_b32 v28, v30, v24
	v_cndmask_b32_e64 v23, -v23, v23, s[10:11]
	v_cndmask_b32_e64 v25, -v25, v25, s[10:11]
	s_waitcnt lgkmcnt(2)
	v_add_f32_e32 v48, v25, v27
	s_waitcnt lgkmcnt(1)
	v_add_f32_e32 v49, v23, v26
	v_cndmask_b32_e64 v23, -v24, v24, s[10:11]
	s_waitcnt lgkmcnt(0)
	v_add_f32_e32 v50, v23, v28
	v_lshrrev_b32_e32 v23, 6, v0
	v_and_b32_e32 v24, 3, v0
	v_lshrrev_b32_e32 v25, 2, v0
	v_xor_b32_e32 v0, v23, v0
	v_lshl_add_u32 v28, v0, 4, 0
	v_lshl_or_b32 v0, v24, 6, v25
	v_xor_b32_e32 v0, v0, v24
	v_lshl_add_u32 v0, v0, 4, 0
	s_barrier
	ds_write_b128 v28, v[1:4]
	ds_write_b128 v28, v[5:8] offset:4096
	ds_write_b128 v28, v[9:12] offset:8192
	;; [unrolled: 1-line block ×7, first 2 shown]
	s_waitcnt lgkmcnt(0)
	s_barrier
	ds_read_b128 v[1:4], v0
	ds_read_b128 v[5:8], v0 offset:4096
	ds_read_b128 v[9:12], v0 offset:8192
	;; [unrolled: 1-line block ×5, first 2 shown]
	s_waitcnt lgkmcnt(5)
	ds_bpermute_b32 v27, v21, v1
	ds_bpermute_b32 v29, v21, v2
	v_cndmask_b32_e64 v1, -v1, v1, s[14:15]
	v_cndmask_b32_e64 v2, -v2, v2, s[14:15]
	ds_read_b128 v[36:39], v0 offset:24576
	ds_read_b128 v[40:43], v0 offset:28672
	s_waitcnt lgkmcnt(3)
	v_add_f32_e32 v1, v1, v27
	ds_bpermute_b32 v27, v21, v3
	s_waitcnt lgkmcnt(3)
	v_add_f32_e32 v2, v2, v29
	ds_bpermute_b32 v29, v21, v4
	v_cndmask_b32_e64 v3, -v3, v3, s[14:15]
	v_cndmask_b32_e64 v4, -v4, v4, s[14:15]
	s_waitcnt lgkmcnt(1)
	v_add_f32_e32 v3, v3, v27
	ds_bpermute_b32 v27, v21, v5
	s_waitcnt lgkmcnt(1)
	v_add_f32_e32 v4, v4, v29
	ds_bpermute_b32 v29, v21, v6
	v_cndmask_b32_e64 v5, -v5, v5, s[14:15]
	v_cndmask_b32_e64 v6, -v6, v6, s[14:15]
	;; [unrolled: 8-line block ×13, first 2 shown]
	s_waitcnt lgkmcnt(1)
	v_add_f32_e32 v30, v36, v30
	ds_bpermute_b32 v36, v21, v40
	s_waitcnt lgkmcnt(1)
	v_add_f32_e32 v31, v37, v31
	ds_bpermute_b32 v37, v21, v41
	v_cndmask_b32_e64 v38, -v40, v40, s[14:15]
	s_waitcnt lgkmcnt(0)
	v_add_f32_e32 v40, v38, v36
	ds_bpermute_b32 v36, v21, v42
	v_cndmask_b32_e64 v38, -v41, v41, s[14:15]
	v_add_f32_e32 v41, v38, v37
	ds_bpermute_b32 v21, v21, v43
	v_cndmask_b32_e64 v37, -v42, v42, s[14:15]
	s_waitcnt lgkmcnt(1)
	v_add_f32_e32 v42, v37, v36
	ds_bpermute_b32 v36, v22, v1
	v_cndmask_b32_e64 v37, -v43, v43, s[14:15]
	s_waitcnt lgkmcnt(1)
	;; [unrolled: 4-line block ×30, first 2 shown]
	v_add_f32_e32 v39, v30, v29
	v_cndmask_b32_e64 v29, -v40, v40, s[8:9]
	ds_bpermute_b32 v30, v22, v41
	s_waitcnt lgkmcnt(1)
	v_add_f32_e32 v40, v29, v27
	ds_bpermute_b32 v27, v22, v42
	ds_bpermute_b32 v22, v22, v21
	v_cndmask_b32_e64 v29, -v41, v41, s[8:9]
	s_waitcnt lgkmcnt(2)
	v_add_f32_e32 v41, v29, v30
	v_cndmask_b32_e64 v29, -v42, v42, s[8:9]
	v_cndmask_b32_e64 v21, -v21, v21, s[8:9]
	s_waitcnt lgkmcnt(1)
	v_add_f32_e32 v42, v29, v27
	s_waitcnt lgkmcnt(0)
	v_add_f32_e32 v43, v21, v22
	s_barrier
	ds_write_b128 v0, v[1:4]
	ds_write_b128 v0, v[5:8] offset:4096
	ds_write_b128 v0, v[9:12] offset:8192
	;; [unrolled: 1-line block ×7, first 2 shown]
	s_waitcnt lgkmcnt(0)
	s_barrier
	s_mul_i32 s4, s22, s7
	s_mul_hi_u32 s5, s22, s6
	ds_read_b128 v[0:3], v28
	ds_read_b128 v[8:11], v28 offset:8192
	ds_read_b128 v[4:7], v28 offset:16384
	;; [unrolled: 1-line block ×7, first 2 shown]
	s_add_i32 s4, s5, s4
	s_mul_i32 s5, s23, s6
	s_add_i32 s5, s4, s5
	s_mul_i32 s4, s22, s6
	s_lshl_b64 s[4:5], s[4:5], 1
	s_add_u32 s4, s18, s4
	s_addc_u32 s5, s19, s5
	s_waitcnt lgkmcnt(6)
	v_add_f32_e32 v36, v0, v8
	v_add_f32_e32 v37, v1, v9
	s_waitcnt lgkmcnt(4)
	v_add_f32_e32 v40, v4, v12
	v_add_f32_e32 v41, v5, v13
	;; [unrolled: 1-line block ×6, first 2 shown]
	s_waitcnt lgkmcnt(2)
	v_add_f32_e32 v44, v16, v20
	v_add_f32_e32 v45, v17, v21
	s_waitcnt lgkmcnt(0)
	v_add_f32_e32 v48, v24, v28
	v_add_f32_e32 v49, v25, v29
	;; [unrolled: 1-line block ×6, first 2 shown]
	s_and_saveexec_b64 s[6:7], s[0:1]
	s_cbranch_execz .LBB23_10
; %bb.9:
	v_add_f32_e32 v52, v46, v50
	v_add_f32_e32 v53, v44, v48
	;; [unrolled: 1-line block ×8, first 2 shown]
	v_fma_mixlo_f16 v55, s16, v52, 0
	v_fma_mixlo_f16 v54, s16, v53, 0
	;; [unrolled: 1-line block ×4, first 2 shown]
	v_fma_mixhi_f16 v55, s16, v56, 0
	v_fma_mixhi_f16 v54, s16, v57, 0
	;; [unrolled: 1-line block ×4, first 2 shown]
	global_store_dwordx4 v33, v[52:55], s[4:5]
.LBB23_10:
	s_or_b64 exec, exec, s[6:7]
	v_sub_f32_e32 v1, v1, v9
	v_sub_f32_e32 v0, v0, v8
	;; [unrolled: 1-line block ×16, first 2 shown]
	s_and_saveexec_b64 s[0:1], vcc
	s_cbranch_execnz .LBB23_14
; %bb.11:
	s_or_b64 exec, exec, s[0:1]
	s_and_saveexec_b64 s[0:1], s[2:3]
	s_cbranch_execnz .LBB23_15
.LBB23_12:
	s_or_b64 exec, exec, s[0:1]
	s_and_saveexec_b64 s[0:1], s[12:13]
	s_cbranch_execnz .LBB23_16
.LBB23_13:
	s_endpgm
.LBB23_14:
	v_add_f32_e32 v16, v0, v4
	v_add_f32_e32 v17, v2, v9
	;; [unrolled: 1-line block ×5, first 2 shown]
	v_fma_mixlo_f16 v16, s16, v16, 0
	v_add_f32_e32 v21, v3, v8
	v_fma_mixlo_f16 v17, s16, v17, 0
	v_add_f32_e32 v22, v6, v12
	;; [unrolled: 2-line block ×3, first 2 shown]
	v_fma_mixlo_f16 v19, s16, v19, 0
	v_fma_mixhi_f16 v19, s16, v23, 0
	v_fma_mixhi_f16 v18, s16, v22, 0
	;; [unrolled: 1-line block ×4, first 2 shown]
	global_store_dwordx4 v32, v[16:19], s[4:5]
	s_or_b64 exec, exec, s[0:1]
	s_and_saveexec_b64 s[0:1], s[2:3]
	s_cbranch_execz .LBB23_12
.LBB23_15:
	v_sub_f32_e32 v16, v36, v40
	v_sub_f32_e32 v17, v38, v42
	;; [unrolled: 1-line block ×5, first 2 shown]
	v_fma_mixlo_f16 v16, s16, v16, 0
	v_sub_f32_e32 v21, v39, v43
	v_fma_mixlo_f16 v17, s16, v17, 0
	v_sub_f32_e32 v22, v45, v49
	;; [unrolled: 2-line block ×3, first 2 shown]
	v_fma_mixlo_f16 v19, s16, v19, 0
	v_fma_mixhi_f16 v19, s16, v23, 0
	v_fma_mixhi_f16 v18, s16, v22, 0
	;; [unrolled: 1-line block ×4, first 2 shown]
	global_store_dwordx4 v34, v[16:19], s[4:5]
	s_or_b64 exec, exec, s[0:1]
	s_and_saveexec_b64 s[0:1], s[12:13]
	s_cbranch_execz .LBB23_13
.LBB23_16:
	v_sub_f32_e32 v5, v1, v5
	v_sub_f32_e32 v0, v0, v4
	;; [unrolled: 1-line block ×6, first 2 shown]
	v_fma_mixlo_f16 v0, s16, v0, 0
	v_fma_mixlo_f16 v1, s16, v1, 0
	v_sub_f32_e32 v6, v6, v12
	v_fma_mixlo_f16 v2, s16, v2, 0
	v_sub_f32_e32 v7, v10, v14
	v_fma_mixlo_f16 v3, s16, v3, 0
	v_fma_mixhi_f16 v3, s16, v7, 0
	v_fma_mixhi_f16 v2, s16, v6, 0
	;; [unrolled: 1-line block ×4, first 2 shown]
	global_store_dwordx4 v35, v[0:3], s[4:5]
	s_endpgm
	.section	.rodata,"a",@progbits
	.p2align	6, 0x0
	.amdhsa_kernel _Z30fast_hadamard_transform_kernelI37fast_hadamard_transform_kernel_traitsILi256ELi13E6__halfEEv18HadamardParamsBase
		.amdhsa_group_segment_fixed_size 0
		.amdhsa_private_segment_fixed_size 0
		.amdhsa_kernarg_size 312
		.amdhsa_user_sgpr_count 6
		.amdhsa_user_sgpr_private_segment_buffer 1
		.amdhsa_user_sgpr_dispatch_ptr 0
		.amdhsa_user_sgpr_queue_ptr 0
		.amdhsa_user_sgpr_kernarg_segment_ptr 1
		.amdhsa_user_sgpr_dispatch_id 0
		.amdhsa_user_sgpr_flat_scratch_init 0
		.amdhsa_user_sgpr_private_segment_size 0
		.amdhsa_uses_dynamic_stack 0
		.amdhsa_system_sgpr_private_segment_wavefront_offset 0
		.amdhsa_system_sgpr_workgroup_id_x 1
		.amdhsa_system_sgpr_workgroup_id_y 0
		.amdhsa_system_sgpr_workgroup_id_z 0
		.amdhsa_system_sgpr_workgroup_info 0
		.amdhsa_system_vgpr_workitem_id 0
		.amdhsa_next_free_vgpr 62
		.amdhsa_next_free_sgpr 24
		.amdhsa_reserve_vcc 1
		.amdhsa_reserve_flat_scratch 0
		.amdhsa_float_round_mode_32 0
		.amdhsa_float_round_mode_16_64 0
		.amdhsa_float_denorm_mode_32 3
		.amdhsa_float_denorm_mode_16_64 3
		.amdhsa_dx10_clamp 1
		.amdhsa_ieee_mode 1
		.amdhsa_fp16_overflow 0
		.amdhsa_exception_fp_ieee_invalid_op 0
		.amdhsa_exception_fp_denorm_src 0
		.amdhsa_exception_fp_ieee_div_zero 0
		.amdhsa_exception_fp_ieee_overflow 0
		.amdhsa_exception_fp_ieee_underflow 0
		.amdhsa_exception_fp_ieee_inexact 0
		.amdhsa_exception_int_div_zero 0
	.end_amdhsa_kernel
	.section	.text._Z30fast_hadamard_transform_kernelI37fast_hadamard_transform_kernel_traitsILi256ELi13E6__halfEEv18HadamardParamsBase,"axG",@progbits,_Z30fast_hadamard_transform_kernelI37fast_hadamard_transform_kernel_traitsILi256ELi13E6__halfEEv18HadamardParamsBase,comdat
.Lfunc_end23:
	.size	_Z30fast_hadamard_transform_kernelI37fast_hadamard_transform_kernel_traitsILi256ELi13E6__halfEEv18HadamardParamsBase, .Lfunc_end23-_Z30fast_hadamard_transform_kernelI37fast_hadamard_transform_kernel_traitsILi256ELi13E6__halfEEv18HadamardParamsBase
                                        ; -- End function
	.set _Z30fast_hadamard_transform_kernelI37fast_hadamard_transform_kernel_traitsILi256ELi13E6__halfEEv18HadamardParamsBase.num_vgpr, 62
	.set _Z30fast_hadamard_transform_kernelI37fast_hadamard_transform_kernel_traitsILi256ELi13E6__halfEEv18HadamardParamsBase.num_agpr, 0
	.set _Z30fast_hadamard_transform_kernelI37fast_hadamard_transform_kernel_traitsILi256ELi13E6__halfEEv18HadamardParamsBase.numbered_sgpr, 24
	.set _Z30fast_hadamard_transform_kernelI37fast_hadamard_transform_kernel_traitsILi256ELi13E6__halfEEv18HadamardParamsBase.num_named_barrier, 0
	.set _Z30fast_hadamard_transform_kernelI37fast_hadamard_transform_kernel_traitsILi256ELi13E6__halfEEv18HadamardParamsBase.private_seg_size, 0
	.set _Z30fast_hadamard_transform_kernelI37fast_hadamard_transform_kernel_traitsILi256ELi13E6__halfEEv18HadamardParamsBase.uses_vcc, 1
	.set _Z30fast_hadamard_transform_kernelI37fast_hadamard_transform_kernel_traitsILi256ELi13E6__halfEEv18HadamardParamsBase.uses_flat_scratch, 0
	.set _Z30fast_hadamard_transform_kernelI37fast_hadamard_transform_kernel_traitsILi256ELi13E6__halfEEv18HadamardParamsBase.has_dyn_sized_stack, 0
	.set _Z30fast_hadamard_transform_kernelI37fast_hadamard_transform_kernel_traitsILi256ELi13E6__halfEEv18HadamardParamsBase.has_recursion, 0
	.set _Z30fast_hadamard_transform_kernelI37fast_hadamard_transform_kernel_traitsILi256ELi13E6__halfEEv18HadamardParamsBase.has_indirect_call, 0
	.section	.AMDGPU.csdata,"",@progbits
; Kernel info:
; codeLenInByte = 8320
; TotalNumSgprs: 28
; NumVgprs: 62
; ScratchSize: 0
; MemoryBound: 0
; FloatMode: 240
; IeeeMode: 1
; LDSByteSize: 0 bytes/workgroup (compile time only)
; SGPRBlocks: 3
; VGPRBlocks: 15
; NumSGPRsForWavesPerEU: 28
; NumVGPRsForWavesPerEU: 62
; Occupancy: 4
; WaveLimiterHint : 0
; COMPUTE_PGM_RSRC2:SCRATCH_EN: 0
; COMPUTE_PGM_RSRC2:USER_SGPR: 6
; COMPUTE_PGM_RSRC2:TRAP_HANDLER: 0
; COMPUTE_PGM_RSRC2:TGID_X_EN: 1
; COMPUTE_PGM_RSRC2:TGID_Y_EN: 0
; COMPUTE_PGM_RSRC2:TGID_Z_EN: 0
; COMPUTE_PGM_RSRC2:TIDIG_COMP_CNT: 0
	.section	.text._Z30fast_hadamard_transform_kernelI37fast_hadamard_transform_kernel_traitsILi256ELi14E6__halfEEv18HadamardParamsBase,"axG",@progbits,_Z30fast_hadamard_transform_kernelI37fast_hadamard_transform_kernel_traitsILi256ELi14E6__halfEEv18HadamardParamsBase,comdat
	.protected	_Z30fast_hadamard_transform_kernelI37fast_hadamard_transform_kernel_traitsILi256ELi14E6__halfEEv18HadamardParamsBase ; -- Begin function _Z30fast_hadamard_transform_kernelI37fast_hadamard_transform_kernel_traitsILi256ELi14E6__halfEEv18HadamardParamsBase
	.globl	_Z30fast_hadamard_transform_kernelI37fast_hadamard_transform_kernel_traitsILi256ELi14E6__halfEEv18HadamardParamsBase
	.p2align	8
	.type	_Z30fast_hadamard_transform_kernelI37fast_hadamard_transform_kernel_traitsILi256ELi14E6__halfEEv18HadamardParamsBase,@function
_Z30fast_hadamard_transform_kernelI37fast_hadamard_transform_kernel_traitsILi256ELi14E6__halfEEv18HadamardParamsBase: ; @_Z30fast_hadamard_transform_kernelI37fast_hadamard_transform_kernel_traitsILi256ELi14E6__halfEEv18HadamardParamsBase
; %bb.0:
	s_load_dwordx4 s[24:27], s[4:5], 0x10
	s_load_dword s16, s[4:5], 0x4
	s_load_dwordx4 s[20:23], s[4:5], 0x28
	s_ashr_i32 s7, s6, 31
	s_load_dword s2, s[4:5], 0x44
	s_waitcnt lgkmcnt(0)
	s_mul_hi_u32 s0, s24, s6
	s_mul_i32 s1, s24, s7
	s_add_i32 s0, s0, s1
	s_mul_i32 s1, s25, s6
	s_add_i32 s1, s0, s1
	s_mul_i32 s0, s24, s6
	s_lshl_b64 s[0:1], s[0:1], 1
	s_add_u32 s14, s20, s0
	v_lshlrev_b32_e32 v1, 3, v0
	s_addc_u32 s15, s21, s1
	v_cmp_gt_u32_e64 s[10:11], s16, v1
	v_mov_b32_e32 v1, 0
	v_lshlrev_b32_e32 v70, 4, v0
	v_mov_b32_e32 v2, 0
	v_mov_b32_e32 v3, 0
	v_mov_b32_e32 v4, 0
	v_mov_b32_e32 v5, 0
	v_mov_b32_e32 v6, 0
	v_mov_b32_e32 v7, 0
	v_mov_b32_e32 v9, 0
	v_mov_b32_e32 v10, 0
	s_and_saveexec_b64 s[0:1], s[10:11]
	s_cbranch_execz .LBB24_2
; %bb.1:
	global_load_dwordx4 v[11:14], v70, s[14:15]
	s_waitcnt vmcnt(0)
	v_cvt_f32_f16_e32 v10, v11
	v_cvt_f32_f16_sdwa v9, v11 dst_sel:DWORD dst_unused:UNUSED_PAD src0_sel:WORD_1
	v_cvt_f32_f16_e32 v7, v12
	v_cvt_f32_f16_sdwa v6, v12 dst_sel:DWORD dst_unused:UNUSED_PAD src0_sel:WORD_1
	;; [unrolled: 2-line block ×4, first 2 shown]
.LBB24_2:
	s_or_b64 exec, exec, s[0:1]
	s_and_b32 s17, 0xffff, s2
	v_add_u32_e32 v15, s17, v0
	v_lshlrev_b32_e32 v8, 3, v15
	v_cmp_gt_u32_e64 s[2:3], s16, v8
	v_lshlrev_b32_e32 v66, 4, v15
	v_mov_b32_e32 v8, 0
	v_mov_b32_e32 v11, 0
	;; [unrolled: 1-line block ×7, first 2 shown]
	s_and_saveexec_b64 s[0:1], s[2:3]
	s_cbranch_execz .LBB24_4
; %bb.3:
	global_load_dwordx4 v[20:23], v66, s[14:15]
	s_waitcnt vmcnt(0)
	v_cvt_f32_f16_e32 v19, v20
	v_cvt_f32_f16_sdwa v18, v20 dst_sel:DWORD dst_unused:UNUSED_PAD src0_sel:WORD_1
	v_cvt_f32_f16_e32 v14, v21
	v_cvt_f32_f16_sdwa v13, v21 dst_sel:DWORD dst_unused:UNUSED_PAD src0_sel:WORD_1
	;; [unrolled: 2-line block ×4, first 2 shown]
.LBB24_4:
	s_or_b64 exec, exec, s[0:1]
	v_add_u32_e32 v24, s17, v15
	v_lshlrev_b32_e32 v15, 3, v24
	v_cmp_gt_u32_e64 s[0:1], s16, v15
	v_mov_b32_e32 v15, 0
	v_lshlrev_b32_e32 v65, 4, v24
	v_mov_b32_e32 v16, 0
	v_mov_b32_e32 v17, 0
	;; [unrolled: 1-line block ×8, first 2 shown]
	s_and_saveexec_b64 s[8:9], s[0:1]
	s_cbranch_execz .LBB24_6
; %bb.5:
	global_load_dwordx4 v[27:30], v65, s[14:15]
	s_waitcnt vmcnt(0)
	v_cvt_f32_f16_e32 v26, v27
	v_cvt_f32_f16_sdwa v25, v27 dst_sel:DWORD dst_unused:UNUSED_PAD src0_sel:WORD_1
	v_cvt_f32_f16_e32 v23, v28
	v_cvt_f32_f16_sdwa v22, v28 dst_sel:DWORD dst_unused:UNUSED_PAD src0_sel:WORD_1
	v_cvt_f32_f16_e32 v21, v29
	v_cvt_f32_f16_sdwa v20, v29 dst_sel:DWORD dst_unused:UNUSED_PAD src0_sel:WORD_1
	v_cvt_f32_f16_e32 v17, v30
	v_cvt_f32_f16_sdwa v16, v30 dst_sel:DWORD dst_unused:UNUSED_PAD src0_sel:WORD_1
.LBB24_6:
	s_or_b64 exec, exec, s[8:9]
	v_add_u32_e32 v31, s17, v24
	v_lshlrev_b32_e32 v24, 3, v31
	v_cmp_gt_u32_e32 vcc, s16, v24
	v_lshlrev_b32_e32 v64, 4, v31
	v_mov_b32_e32 v24, 0
	v_mov_b32_e32 v27, 0
	;; [unrolled: 1-line block ×7, first 2 shown]
	s_and_saveexec_b64 s[8:9], vcc
	s_cbranch_execz .LBB24_8
; %bb.7:
	global_load_dwordx4 v[36:39], v64, s[14:15]
	s_waitcnt vmcnt(0)
	v_cvt_f32_f16_e32 v35, v36
	v_cvt_f32_f16_sdwa v34, v36 dst_sel:DWORD dst_unused:UNUSED_PAD src0_sel:WORD_1
	v_cvt_f32_f16_e32 v30, v37
	v_cvt_f32_f16_sdwa v29, v37 dst_sel:DWORD dst_unused:UNUSED_PAD src0_sel:WORD_1
	;; [unrolled: 2-line block ×4, first 2 shown]
.LBB24_8:
	s_or_b64 exec, exec, s[8:9]
	v_add_u32_e32 v40, s17, v31
	v_lshlrev_b32_e32 v31, 3, v40
	v_cmp_gt_u32_e64 s[18:19], s16, v31
	v_mov_b32_e32 v31, 0
	v_lshlrev_b32_e32 v67, 4, v40
	v_mov_b32_e32 v32, 0
	v_mov_b32_e32 v33, 0
	;; [unrolled: 1-line block ×8, first 2 shown]
	s_and_saveexec_b64 s[8:9], s[18:19]
	s_cbranch_execz .LBB24_10
; %bb.9:
	global_load_dwordx4 v[43:46], v67, s[14:15]
	s_waitcnt vmcnt(0)
	v_cvt_f32_f16_e32 v42, v43
	v_cvt_f32_f16_sdwa v41, v43 dst_sel:DWORD dst_unused:UNUSED_PAD src0_sel:WORD_1
	v_cvt_f32_f16_e32 v39, v44
	v_cvt_f32_f16_sdwa v38, v44 dst_sel:DWORD dst_unused:UNUSED_PAD src0_sel:WORD_1
	;; [unrolled: 2-line block ×4, first 2 shown]
.LBB24_10:
	s_or_b64 exec, exec, s[8:9]
	v_add_u32_e32 v47, s17, v40
	v_lshlrev_b32_e32 v40, 3, v47
	v_cmp_gt_u32_e64 s[20:21], s16, v40
	v_lshlrev_b32_e32 v68, 4, v47
	v_mov_b32_e32 v40, 0
	v_mov_b32_e32 v43, 0
	;; [unrolled: 1-line block ×7, first 2 shown]
	s_and_saveexec_b64 s[8:9], s[20:21]
	s_cbranch_execz .LBB24_12
; %bb.11:
	global_load_dwordx4 v[52:55], v68, s[14:15]
	s_waitcnt vmcnt(0)
	v_cvt_f32_f16_e32 v51, v52
	v_cvt_f32_f16_sdwa v50, v52 dst_sel:DWORD dst_unused:UNUSED_PAD src0_sel:WORD_1
	v_cvt_f32_f16_e32 v46, v53
	v_cvt_f32_f16_sdwa v45, v53 dst_sel:DWORD dst_unused:UNUSED_PAD src0_sel:WORD_1
	;; [unrolled: 2-line block ×4, first 2 shown]
.LBB24_12:
	s_or_b64 exec, exec, s[8:9]
	v_add_u32_e32 v56, s17, v47
	v_lshlrev_b32_e32 v47, 3, v56
	v_cmp_gt_u32_e64 s[8:9], s16, v47
	v_mov_b32_e32 v47, 0
	v_lshlrev_b32_e32 v69, 4, v56
	v_mov_b32_e32 v48, 0
	v_mov_b32_e32 v49, 0
	;; [unrolled: 1-line block ×8, first 2 shown]
	s_and_saveexec_b64 s[12:13], s[8:9]
	s_cbranch_execz .LBB24_14
; %bb.13:
	global_load_dwordx4 v[59:62], v69, s[14:15]
	s_waitcnt vmcnt(0)
	v_cvt_f32_f16_e32 v58, v59
	v_cvt_f32_f16_sdwa v57, v59 dst_sel:DWORD dst_unused:UNUSED_PAD src0_sel:WORD_1
	v_cvt_f32_f16_e32 v55, v60
	v_cvt_f32_f16_sdwa v54, v60 dst_sel:DWORD dst_unused:UNUSED_PAD src0_sel:WORD_1
	;; [unrolled: 2-line block ×4, first 2 shown]
.LBB24_14:
	s_or_b64 exec, exec, s[12:13]
	v_add_u32_e32 v56, s17, v56
	v_lshlrev_b32_e32 v59, 3, v56
	v_cmp_gt_u32_e64 s[12:13], s16, v59
	v_lshlrev_b32_e32 v71, 4, v56
	v_mov_b32_e32 v56, 0
	v_mov_b32_e32 v59, 0
	;; [unrolled: 1-line block ×7, first 2 shown]
	s_and_saveexec_b64 s[16:17], s[12:13]
	s_cbranch_execz .LBB24_16
; %bb.15:
	global_load_dwordx4 v[73:76], v71, s[14:15]
	s_waitcnt vmcnt(0)
	v_cvt_f32_f16_e32 v72, v73
	v_cvt_f32_f16_sdwa v63, v73 dst_sel:DWORD dst_unused:UNUSED_PAD src0_sel:WORD_1
	v_cvt_f32_f16_e32 v62, v74
	v_cvt_f32_f16_sdwa v61, v74 dst_sel:DWORD dst_unused:UNUSED_PAD src0_sel:WORD_1
	;; [unrolled: 2-line block ×4, first 2 shown]
.LBB24_16:
	s_or_b64 exec, exec, s[16:17]
	v_add_f32_e32 v73, v9, v10
	v_sub_f32_e32 v9, v10, v9
	v_add_f32_e32 v10, v18, v19
	v_sub_f32_e32 v18, v19, v18
	;; [unrolled: 2-line block ×63, first 2 shown]
	v_add_f32_e32 v52, v47, v59
	v_add_f32_e32 v75, v8, v14
	v_sub_f32_e32 v8, v14, v8
	v_add_f32_e32 v14, v17, v23
	v_sub_f32_e32 v17, v23, v17
	;; [unrolled: 2-line block ×8, first 2 shown]
	v_mbcnt_lo_u32_b32 v1, -1, 0
	v_add_f32_e32 v74, v11, v18
	v_sub_f32_e32 v11, v18, v11
	v_add_f32_e32 v18, v20, v25
	v_sub_f32_e32 v20, v25, v20
	;; [unrolled: 2-line block ×8, first 2 shown]
	v_mbcnt_hi_u32_b32 v3, -1, v1
	v_and_b32_e32 v1, 64, v3
	v_sub_f32_e32 v47, v59, v47
	v_add_f32_e32 v59, v56, v63
	v_sub_f32_e32 v56, v56, v63
	v_add_f32_e32 v63, v62, v73
	;; [unrolled: 2-line block ×10, first 2 shown]
	v_sub_f32_e32 v9, v9, v4
	v_add_u32_e32 v4, 64, v1
	v_xor_b32_e32 v1, 1, v3
	s_load_dword s24, s[4:5], 0x20
	v_cmp_lt_i32_e64 s[4:5], v1, v4
	v_cndmask_b32_e64 v1, v3, v1, s[4:5]
	v_lshlrev_b32_e32 v1, 2, v1
	v_add_f32_e32 v76, v16, v22
	v_sub_f32_e32 v16, v22, v16
	v_add_f32_e32 v22, v15, v29
	v_sub_f32_e32 v15, v29, v15
	;; [unrolled: 2-line block ×6, first 2 shown]
	ds_bpermute_b32 v61, v1, v59
	v_and_b32_e32 v77, 1, v0
	v_cmp_eq_u32_e64 s[14:15], 0, v77
	v_cndmask_b32_e64 v59, -v59, v59, s[14:15]
	ds_bpermute_b32 v77, v1, v55
	s_waitcnt lgkmcnt(0)
	v_add_f32_e32 v59, v59, v61
	ds_bpermute_b32 v61, v1, v57
	v_cndmask_b32_e64 v57, -v57, v57, s[14:15]
	v_cndmask_b32_e64 v55, -v55, v55, s[14:15]
	v_add_f32_e32 v55, v55, v77
	ds_bpermute_b32 v77, v1, v53
	s_waitcnt lgkmcnt(1)
	v_add_f32_e32 v57, v57, v61
	ds_bpermute_b32 v61, v1, v56
	v_cndmask_b32_e64 v56, -v56, v56, s[14:15]
	v_cndmask_b32_e64 v53, -v53, v53, s[14:15]
	s_waitcnt lgkmcnt(1)
	v_add_f32_e32 v53, v53, v77
	ds_bpermute_b32 v77, v1, v2
	s_waitcnt lgkmcnt(1)
	v_add_f32_e32 v56, v56, v61
	ds_bpermute_b32 v61, v1, v60
	v_cndmask_b32_e64 v60, -v60, v60, s[14:15]
	v_cndmask_b32_e64 v2, -v2, v2, s[14:15]
	s_waitcnt lgkmcnt(1)
	;; [unrolled: 8-line block ×27, first 2 shown]
	v_add_f32_e32 v50, v50, v2
	ds_bpermute_b32 v2, v1, v54
	s_waitcnt lgkmcnt(1)
	v_add_f32_e32 v42, v42, v75
	ds_bpermute_b32 v75, v1, v46
	v_cndmask_b32_e64 v46, -v46, v46, s[14:15]
	ds_bpermute_b32 v78, v1, v51
	v_cndmask_b32_e64 v54, -v54, v54, s[14:15]
	s_waitcnt lgkmcnt(2)
	v_add_f32_e32 v54, v54, v2
	s_waitcnt lgkmcnt(1)
	v_add_f32_e32 v46, v46, v75
	ds_bpermute_b32 v75, v1, v44
	v_cndmask_b32_e64 v2, -v44, v44, s[14:15]
	v_cndmask_b32_e64 v51, -v51, v51, s[14:15]
	s_waitcnt lgkmcnt(1)
	v_add_f32_e32 v51, v51, v78
	ds_bpermute_b32 v78, v1, v47
	s_waitcnt lgkmcnt(1)
	v_add_f32_e32 v75, v2, v75
	ds_bpermute_b32 v2, v1, v49
	v_cndmask_b32_e64 v49, -v49, v49, s[14:15]
	ds_bpermute_b32 v44, v1, v52
	v_cndmask_b32_e64 v52, -v52, v52, s[14:15]
	s_waitcnt lgkmcnt(0)
	v_add_f32_e32 v49, v49, v2
	v_cndmask_b32_e64 v2, -v47, v47, s[14:15]
	v_add_f32_e32 v47, v2, v78
	v_xor_b32_e32 v2, 2, v3
	v_cmp_lt_i32_e64 s[4:5], v2, v4
	v_cndmask_b32_e64 v2, v3, v2, s[4:5]
	v_lshlrev_b32_e32 v2, 2, v2
	v_add_f32_e32 v44, v52, v44
	ds_bpermute_b32 v52, v2, v59
	v_and_b32_e32 v78, 2, v0
	v_cmp_eq_u32_e64 s[16:17], 0, v78
	v_cndmask_b32_e64 v59, -v59, v59, s[16:17]
	ds_bpermute_b32 v78, v2, v55
	s_waitcnt lgkmcnt(1)
	v_add_f32_e32 v52, v59, v52
	ds_bpermute_b32 v59, v2, v57
	v_cndmask_b32_e64 v57, -v57, v57, s[16:17]
	v_cndmask_b32_e64 v55, -v55, v55, s[16:17]
	s_waitcnt lgkmcnt(1)
	v_add_f32_e32 v55, v55, v78
	ds_bpermute_b32 v78, v2, v53
	s_waitcnt lgkmcnt(1)
	v_add_f32_e32 v57, v57, v59
	ds_bpermute_b32 v59, v2, v56
	v_cndmask_b32_e64 v56, -v56, v56, s[16:17]
	v_cndmask_b32_e64 v53, -v53, v53, s[16:17]
	s_waitcnt lgkmcnt(1)
	v_add_f32_e32 v53, v53, v78
	;; [unrolled: 8-line block ×28, first 2 shown]
	ds_bpermute_b32 v78, v2, v54
	s_waitcnt lgkmcnt(1)
	v_add_f32_e32 v42, v42, v73
	ds_bpermute_b32 v73, v2, v46
	v_cndmask_b32_e64 v46, -v46, v46, s[16:17]
	ds_bpermute_b32 v79, v2, v51
	v_cndmask_b32_e64 v54, -v54, v54, s[16:17]
	s_waitcnt lgkmcnt(2)
	v_add_f32_e32 v54, v54, v78
	s_waitcnt lgkmcnt(1)
	v_add_f32_e32 v46, v46, v73
	ds_bpermute_b32 v73, v2, v75
	v_cndmask_b32_e64 v75, -v75, v75, s[16:17]
	ds_bpermute_b32 v78, v2, v44
	v_cndmask_b32_e64 v51, -v51, v51, s[16:17]
	s_waitcnt lgkmcnt(2)
	v_add_f32_e32 v51, v51, v79
	;; [unrolled: 8-line block ×3, first 2 shown]
	s_waitcnt lgkmcnt(1)
	v_add_f32_e32 v49, v49, v75
	v_xor_b32_e32 v75, 4, v3
	v_cmp_lt_i32_e64 s[4:5], v75, v4
	v_cndmask_b32_e64 v75, v3, v75, s[4:5]
	v_lshlrev_b32_e32 v75, 2, v75
	ds_bpermute_b32 v78, v75, v52
	v_cndmask_b32_e64 v47, -v47, v47, s[16:17]
	s_waitcnt lgkmcnt(1)
	v_add_f32_e32 v47, v47, v79
	v_and_b32_e32 v79, 4, v0
	v_cmp_eq_u32_e64 s[4:5], 0, v79
	v_cndmask_b32_e64 v52, -v52, v52, s[4:5]
	s_waitcnt lgkmcnt(0)
	v_add_f32_e32 v52, v52, v78
	ds_bpermute_b32 v78, v75, v57
	v_cndmask_b32_e64 v57, -v57, v57, s[4:5]
	ds_bpermute_b32 v79, v75, v55
	v_cndmask_b32_e64 v55, -v55, v55, s[4:5]
	ds_bpermute_b32 v80, v75, v51
	s_waitcnt lgkmcnt(2)
	v_add_f32_e32 v57, v57, v78
	ds_bpermute_b32 v78, v75, v56
	v_cndmask_b32_e64 v56, -v56, v56, s[4:5]
	s_waitcnt lgkmcnt(2)
	v_add_f32_e32 v55, v55, v79
	ds_bpermute_b32 v79, v75, v53
	v_cndmask_b32_e64 v53, -v53, v53, s[4:5]
	;; [unrolled: 4-line block ×58, first 2 shown]
	s_waitcnt lgkmcnt(1)
	v_add_f32_e32 v73, v73, v78
	ds_bpermute_b32 v78, v75, v49
	ds_bpermute_b32 v75, v75, v47
	v_cndmask_b32_e64 v47, -v47, v47, s[4:5]
	v_cndmask_b32_e64 v44, -v44, v44, s[4:5]
	;; [unrolled: 1-line block ×3, first 2 shown]
	s_waitcnt lgkmcnt(1)
	v_add_f32_e32 v49, v49, v78
	s_waitcnt lgkmcnt(0)
	v_add_f32_e32 v47, v47, v75
	v_xor_b32_e32 v75, 8, v3
	v_cmp_lt_i32_e64 s[4:5], v75, v4
	v_cndmask_b32_e64 v75, v3, v75, s[4:5]
	v_lshlrev_b32_e32 v75, 2, v75
	ds_bpermute_b32 v78, v75, v52
	v_add_f32_e32 v44, v44, v79
	v_and_b32_e32 v79, 8, v0
	v_cmp_eq_u32_e64 s[4:5], 0, v79
	v_cndmask_b32_e64 v52, -v52, v52, s[4:5]
	s_waitcnt lgkmcnt(0)
	v_add_f32_e32 v52, v52, v78
	ds_bpermute_b32 v78, v75, v57
	v_cndmask_b32_e64 v57, -v57, v57, s[4:5]
	ds_bpermute_b32 v79, v75, v55
	v_cndmask_b32_e64 v55, -v55, v55, s[4:5]
	v_add_f32_e32 v51, v51, v80
	s_waitcnt lgkmcnt(1)
	v_add_f32_e32 v57, v57, v78
	ds_bpermute_b32 v78, v75, v56
	v_cndmask_b32_e64 v56, -v56, v56, s[4:5]
	s_waitcnt lgkmcnt(1)
	v_add_f32_e32 v55, v55, v79
	ds_bpermute_b32 v79, v75, v53
	v_cndmask_b32_e64 v53, -v53, v53, s[4:5]
	;; [unrolled: 4-line block ×57, first 2 shown]
	ds_bpermute_b32 v80, v75, v51
	s_waitcnt lgkmcnt(2)
	v_add_f32_e32 v54, v54, v79
	ds_bpermute_b32 v79, v75, v44
	s_waitcnt lgkmcnt(2)
	v_add_f32_e32 v73, v73, v78
	ds_bpermute_b32 v78, v75, v49
	ds_bpermute_b32 v75, v75, v47
	v_cndmask_b32_e64 v47, -v47, v47, s[4:5]
	v_cndmask_b32_e64 v51, -v51, v51, s[4:5]
	;; [unrolled: 1-line block ×4, first 2 shown]
	s_waitcnt lgkmcnt(0)
	v_add_f32_e32 v47, v47, v75
	v_xor_b32_e32 v75, 16, v3
	v_cmp_lt_i32_e64 s[4:5], v75, v4
	v_cndmask_b32_e64 v75, v3, v75, s[4:5]
	v_lshlrev_b32_e32 v75, 2, v75
	v_add_f32_e32 v49, v49, v78
	ds_bpermute_b32 v78, v75, v52
	v_add_f32_e32 v44, v44, v79
	v_and_b32_e32 v79, 16, v0
	v_cmp_eq_u32_e64 s[4:5], 0, v79
	v_cndmask_b32_e64 v52, -v52, v52, s[4:5]
	s_waitcnt lgkmcnt(0)
	v_add_f32_e32 v52, v52, v78
	ds_bpermute_b32 v78, v75, v57
	ds_bpermute_b32 v79, v75, v55
	v_cndmask_b32_e64 v57, -v57, v57, s[4:5]
	v_cndmask_b32_e64 v55, -v55, v55, s[4:5]
	v_add_f32_e32 v51, v51, v80
	s_waitcnt lgkmcnt(1)
	v_add_f32_e32 v57, v57, v78
	ds_bpermute_b32 v78, v75, v56
	s_waitcnt lgkmcnt(1)
	v_add_f32_e32 v55, v55, v79
	ds_bpermute_b32 v79, v75, v53
	v_cndmask_b32_e64 v56, -v56, v56, s[4:5]
	v_cndmask_b32_e64 v53, -v53, v53, s[4:5]
	s_waitcnt lgkmcnt(1)
	v_add_f32_e32 v56, v56, v78
	ds_bpermute_b32 v78, v75, v59
	s_waitcnt lgkmcnt(1)
	v_add_f32_e32 v53, v53, v79
	ds_bpermute_b32 v79, v75, v77
	v_cndmask_b32_e64 v59, -v59, v59, s[4:5]
	v_cndmask_b32_e64 v77, -v77, v77, s[4:5]
	;; [unrolled: 8-line block ×4, first 2 shown]
	s_waitcnt lgkmcnt(1)
	v_add_f32_e32 v61, v61, v78
	ds_bpermute_b32 v78, v75, v62
	ds_bpermute_b32 v80, v75, v51
	s_waitcnt lgkmcnt(2)
	v_add_f32_e32 v79, v6, v79
	ds_bpermute_b32 v6, v75, v9
	v_cndmask_b32_e64 v62, -v62, v62, s[4:5]
	s_waitcnt lgkmcnt(2)
	v_add_f32_e32 v62, v62, v78
	ds_bpermute_b32 v78, v75, v7
	v_cndmask_b32_e64 v51, -v51, v51, s[4:5]
	v_cndmask_b32_e64 v9, -v9, v9, s[4:5]
	s_waitcnt lgkmcnt(2)
	v_add_f32_e32 v51, v51, v80
	s_waitcnt lgkmcnt(1)
	v_add_f32_e32 v80, v9, v6
	ds_bpermute_b32 v6, v75, v13
	v_cndmask_b32_e64 v7, -v7, v7, s[4:5]
	s_waitcnt lgkmcnt(1)
	v_add_f32_e32 v78, v7, v78
	ds_bpermute_b32 v7, v75, v63
	v_cndmask_b32_e64 v9, -v13, v13, s[4:5]
	s_waitcnt lgkmcnt(1)
	v_add_f32_e32 v81, v9, v6
	ds_bpermute_b32 v6, v75, v74
	v_cndmask_b32_e64 v9, -v63, v63, s[4:5]
	s_waitcnt lgkmcnt(1)
	v_add_f32_e32 v63, v9, v7
	ds_bpermute_b32 v7, v75, v72
	v_cndmask_b32_e64 v9, -v74, v74, s[4:5]
	s_waitcnt lgkmcnt(1)
	v_add_f32_e32 v74, v9, v6
	ds_bpermute_b32 v6, v75, v76
	v_cndmask_b32_e64 v9, -v72, v72, s[4:5]
	s_waitcnt lgkmcnt(1)
	v_add_f32_e32 v72, v9, v7
	ds_bpermute_b32 v7, v75, v5
	v_cndmask_b32_e64 v9, -v76, v76, s[4:5]
	s_waitcnt lgkmcnt(1)
	v_add_f32_e32 v76, v9, v6
	ds_bpermute_b32 v6, v75, v11
	v_cndmask_b32_e64 v5, -v5, v5, s[4:5]
	s_waitcnt lgkmcnt(1)
	v_add_f32_e32 v82, v5, v7
	ds_bpermute_b32 v5, v75, v8
	v_cndmask_b32_e64 v7, -v11, v11, s[4:5]
	s_waitcnt lgkmcnt(1)
	v_add_f32_e32 v83, v7, v6
	ds_bpermute_b32 v6, v75, v16
	v_cndmask_b32_e64 v7, -v8, v8, s[4:5]
	s_waitcnt lgkmcnt(1)
	v_add_f32_e32 v84, v7, v5
	ds_bpermute_b32 v5, v75, v10
	v_cndmask_b32_e64 v7, -v16, v16, s[4:5]
	s_waitcnt lgkmcnt(1)
	v_add_f32_e32 v85, v7, v6
	ds_bpermute_b32 v6, v75, v18
	v_cndmask_b32_e64 v7, -v10, v10, s[4:5]
	s_waitcnt lgkmcnt(1)
	v_add_f32_e32 v86, v7, v5
	ds_bpermute_b32 v5, v75, v14
	v_cndmask_b32_e64 v7, -v18, v18, s[4:5]
	s_waitcnt lgkmcnt(1)
	v_add_f32_e32 v87, v7, v6
	ds_bpermute_b32 v6, v75, v22
	v_cndmask_b32_e64 v7, -v14, v14, s[4:5]
	s_waitcnt lgkmcnt(1)
	v_add_f32_e32 v88, v7, v5
	ds_bpermute_b32 v5, v75, v12
	v_cndmask_b32_e64 v7, -v22, v22, s[4:5]
	s_waitcnt lgkmcnt(1)
	v_add_f32_e32 v89, v7, v6
	ds_bpermute_b32 v6, v75, v20
	v_cndmask_b32_e64 v7, -v12, v12, s[4:5]
	s_waitcnt lgkmcnt(1)
	v_add_f32_e32 v90, v7, v5
	ds_bpermute_b32 v5, v75, v17
	v_cndmask_b32_e64 v7, -v20, v20, s[4:5]
	s_waitcnt lgkmcnt(1)
	v_add_f32_e32 v91, v7, v6
	ds_bpermute_b32 v6, v75, v15
	v_cndmask_b32_e64 v7, -v17, v17, s[4:5]
	s_waitcnt lgkmcnt(1)
	v_add_f32_e32 v92, v7, v5
	ds_bpermute_b32 v5, v75, v19
	v_cndmask_b32_e64 v7, -v15, v15, s[4:5]
	s_waitcnt lgkmcnt(1)
	v_add_f32_e32 v93, v7, v6
	ds_bpermute_b32 v6, v75, v25
	v_cndmask_b32_e64 v7, -v19, v19, s[4:5]
	s_waitcnt lgkmcnt(1)
	v_add_f32_e32 v94, v7, v5
	ds_bpermute_b32 v5, v75, v23
	v_cndmask_b32_e64 v7, -v25, v25, s[4:5]
	s_waitcnt lgkmcnt(1)
	v_add_f32_e32 v95, v7, v6
	ds_bpermute_b32 v6, v75, v29
	v_cndmask_b32_e64 v7, -v23, v23, s[4:5]
	s_waitcnt lgkmcnt(1)
	v_add_f32_e32 v96, v7, v5
	ds_bpermute_b32 v5, v75, v21
	v_cndmask_b32_e64 v7, -v29, v29, s[4:5]
	s_waitcnt lgkmcnt(1)
	v_add_f32_e32 v97, v7, v6
	ds_bpermute_b32 v6, v75, v27
	v_cndmask_b32_e64 v7, -v21, v21, s[4:5]
	s_waitcnt lgkmcnt(1)
	v_add_f32_e32 v98, v7, v5
	ds_bpermute_b32 v5, v75, v24
	v_cndmask_b32_e64 v7, -v27, v27, s[4:5]
	s_waitcnt lgkmcnt(1)
	v_add_f32_e32 v99, v7, v6
	ds_bpermute_b32 v6, v75, v32
	v_cndmask_b32_e64 v7, -v24, v24, s[4:5]
	s_waitcnt lgkmcnt(1)
	v_add_f32_e32 v100, v7, v5
	ds_bpermute_b32 v5, v75, v26
	v_cndmask_b32_e64 v7, -v32, v32, s[4:5]
	s_waitcnt lgkmcnt(1)
	v_add_f32_e32 v32, v7, v6
	ds_bpermute_b32 v6, v75, v34
	v_cndmask_b32_e64 v7, -v26, v26, s[4:5]
	s_waitcnt lgkmcnt(1)
	v_add_f32_e32 v101, v7, v5
	ds_bpermute_b32 v5, v75, v30
	v_cndmask_b32_e64 v7, -v34, v34, s[4:5]
	s_waitcnt lgkmcnt(1)
	v_add_f32_e32 v102, v7, v6
	ds_bpermute_b32 v6, v75, v38
	v_cndmask_b32_e64 v7, -v30, v30, s[4:5]
	s_waitcnt lgkmcnt(1)
	v_add_f32_e32 v103, v7, v5
	ds_bpermute_b32 v5, v75, v28
	v_cndmask_b32_e64 v7, -v38, v38, s[4:5]
	s_waitcnt lgkmcnt(1)
	v_add_f32_e32 v104, v7, v6
	ds_bpermute_b32 v6, v75, v36
	v_cndmask_b32_e64 v7, -v28, v28, s[4:5]
	s_waitcnt lgkmcnt(1)
	v_add_f32_e32 v105, v7, v5
	ds_bpermute_b32 v5, v75, v33
	v_cndmask_b32_e64 v7, -v36, v36, s[4:5]
	s_waitcnt lgkmcnt(1)
	v_add_f32_e32 v106, v7, v6
	ds_bpermute_b32 v6, v75, v31
	v_cndmask_b32_e64 v7, -v33, v33, s[4:5]
	s_waitcnt lgkmcnt(1)
	v_add_f32_e32 v107, v7, v5
	ds_bpermute_b32 v5, v75, v35
	v_cndmask_b32_e64 v7, -v31, v31, s[4:5]
	s_waitcnt lgkmcnt(1)
	v_add_f32_e32 v31, v7, v6
	ds_bpermute_b32 v6, v75, v41
	v_cndmask_b32_e64 v7, -v35, v35, s[4:5]
	s_waitcnt lgkmcnt(1)
	v_add_f32_e32 v108, v7, v5
	ds_bpermute_b32 v5, v75, v39
	v_cndmask_b32_e64 v7, -v41, v41, s[4:5]
	s_waitcnt lgkmcnt(1)
	v_add_f32_e32 v109, v7, v6
	ds_bpermute_b32 v6, v75, v45
	v_cndmask_b32_e64 v7, -v39, v39, s[4:5]
	s_waitcnt lgkmcnt(1)
	v_add_f32_e32 v110, v7, v5
	ds_bpermute_b32 v5, v75, v37
	v_cndmask_b32_e64 v7, -v45, v45, s[4:5]
	s_waitcnt lgkmcnt(1)
	v_add_f32_e32 v111, v7, v6
	ds_bpermute_b32 v6, v75, v43
	v_cndmask_b32_e64 v7, -v37, v37, s[4:5]
	s_waitcnt lgkmcnt(1)
	v_add_f32_e32 v112, v7, v5
	ds_bpermute_b32 v5, v75, v40
	v_cndmask_b32_e64 v7, -v43, v43, s[4:5]
	s_waitcnt lgkmcnt(1)
	v_add_f32_e32 v113, v7, v6
	ds_bpermute_b32 v6, v75, v48
	v_cndmask_b32_e64 v7, -v40, v40, s[4:5]
	s_waitcnt lgkmcnt(1)
	v_add_f32_e32 v114, v7, v5
	ds_bpermute_b32 v5, v75, v42
	v_cndmask_b32_e64 v7, -v48, v48, s[4:5]
	s_waitcnt lgkmcnt(1)
	v_add_f32_e32 v115, v7, v6
	ds_bpermute_b32 v6, v75, v50
	v_cndmask_b32_e64 v7, -v42, v42, s[4:5]
	s_waitcnt lgkmcnt(1)
	v_add_f32_e32 v116, v7, v5
	ds_bpermute_b32 v5, v75, v46
	v_cndmask_b32_e64 v7, -v50, v50, s[4:5]
	s_waitcnt lgkmcnt(1)
	v_add_f32_e32 v117, v7, v6
	ds_bpermute_b32 v6, v75, v54
	v_cndmask_b32_e64 v7, -v46, v46, s[4:5]
	s_waitcnt lgkmcnt(1)
	v_add_f32_e32 v118, v7, v5
	ds_bpermute_b32 v5, v75, v73
	v_cndmask_b32_e64 v7, -v54, v54, s[4:5]
	s_waitcnt lgkmcnt(1)
	v_add_f32_e32 v119, v7, v6
	v_cndmask_b32_e64 v6, -v73, v73, s[4:5]
	ds_bpermute_b32 v7, v75, v44
	s_waitcnt lgkmcnt(1)
	v_add_f32_e32 v120, v6, v5
	ds_bpermute_b32 v5, v75, v49
	ds_bpermute_b32 v8, v75, v47
	v_cndmask_b32_e64 v6, -v44, v44, s[4:5]
	s_waitcnt lgkmcnt(2)
	v_add_f32_e32 v121, v6, v7
	v_cndmask_b32_e64 v6, -v49, v49, s[4:5]
	s_waitcnt lgkmcnt(1)
	v_add_f32_e32 v122, v6, v5
	;; [unrolled: 3-line block ×3, first 2 shown]
	v_xor_b32_e32 v5, 32, v3
	v_cmp_lt_i32_e64 s[4:5], v5, v4
	v_cndmask_b32_e64 v3, v3, v5, s[4:5]
	v_lshlrev_b32_e32 v124, 2, v3
	ds_bpermute_b32 v3, v124, v52
	ds_bpermute_b32 v5, v124, v51
	v_and_b32_e32 v4, 32, v0
	ds_bpermute_b32 v6, v124, v57
	v_cmp_eq_u32_e64 s[4:5], 0, v4
	ds_bpermute_b32 v7, v124, v55
	v_cndmask_b32_e64 v4, -v52, v52, s[4:5]
	ds_bpermute_b32 v8, v124, v56
	s_waitcnt lgkmcnt(4)
	v_add_f32_e32 v3, v4, v3
	v_cndmask_b32_e64 v4, -v51, v51, s[4:5]
	ds_bpermute_b32 v9, v124, v53
	s_waitcnt lgkmcnt(4)
	v_add_f32_e32 v4, v4, v5
	;; [unrolled: 4-line block ×34, first 2 shown]
	v_cndmask_b32_e64 v39, -v96, v96, s[4:5]
	ds_bpermute_b32 v44, v124, v100
	ds_bpermute_b32 v45, v124, v32
	s_waitcnt lgkmcnt(5)
	v_add_f32_e32 v39, v39, v40
	v_cndmask_b32_e64 v40, -v97, v97, s[4:5]
	s_waitcnt lgkmcnt(4)
	v_add_f32_e32 v40, v40, v41
	v_cndmask_b32_e64 v41, -v98, v98, s[4:5]
	;; [unrolled: 3-line block ×4, first 2 shown]
	ds_bpermute_b32 v46, v124, v101
	v_cndmask_b32_e64 v32, -v32, v32, s[4:5]
	s_waitcnt lgkmcnt(2)
	v_add_f32_e32 v43, v43, v44
	s_waitcnt lgkmcnt(1)
	v_add_f32_e32 v44, v32, v45
	ds_bpermute_b32 v32, v124, v102
	v_cndmask_b32_e64 v45, -v101, v101, s[4:5]
	s_waitcnt lgkmcnt(1)
	v_add_f32_e32 v45, v45, v46
	ds_bpermute_b32 v47, v124, v103
	v_cndmask_b32_e64 v46, -v102, v102, s[4:5]
	;; [unrolled: 4-line block ×5, first 2 shown]
	s_waitcnt lgkmcnt(1)
	v_add_f32_e32 v49, v50, v49
	v_cndmask_b32_e64 v50, -v106, v106, s[4:5]
	ds_bpermute_b32 v51, v124, v107
	s_waitcnt lgkmcnt(1)
	v_add_f32_e32 v50, v50, v32
	ds_bpermute_b32 v32, v124, v31
	ds_bpermute_b32 v53, v124, v108
	v_cndmask_b32_e64 v52, -v107, v107, s[4:5]
	v_cndmask_b32_e64 v31, -v31, v31, s[4:5]
	s_waitcnt lgkmcnt(2)
	v_add_f32_e32 v51, v52, v51
	s_waitcnt lgkmcnt(1)
	v_add_f32_e32 v52, v31, v32
	ds_bpermute_b32 v31, v124, v109
	v_cndmask_b32_e64 v32, -v108, v108, s[4:5]
	s_waitcnt lgkmcnt(1)
	v_add_f32_e32 v53, v32, v53
	ds_bpermute_b32 v32, v124, v110
	v_cndmask_b32_e64 v54, -v109, v109, s[4:5]
	;; [unrolled: 4-line block ×12, first 2 shown]
	s_waitcnt lgkmcnt(1)
	v_add_f32_e32 v79, v57, v31
	v_cndmask_b32_e64 v31, -v120, v120, s[4:5]
	ds_bpermute_b32 v57, v124, v121
	s_waitcnt lgkmcnt(1)
	v_add_f32_e32 v80, v31, v32
	ds_bpermute_b32 v31, v124, v122
	ds_bpermute_b32 v58, v124, v123
	v_cndmask_b32_e64 v32, -v121, v121, s[4:5]
	s_waitcnt lgkmcnt(2)
	v_add_f32_e32 v81, v32, v57
	v_cndmask_b32_e64 v32, -v122, v122, s[4:5]
	s_waitcnt lgkmcnt(1)
	v_add_f32_e32 v82, v32, v31
	;; [unrolled: 3-line block ×3, first 2 shown]
	v_lshrrev_b32_e32 v31, 6, v0
	v_and_b32_e32 v32, 3, v0
	v_lshrrev_b32_e32 v57, 2, v0
	v_xor_b32_e32 v0, v31, v0
	v_lshl_add_u32 v60, v0, 4, 0
	v_lshl_or_b32 v0, v32, 6, v57
	v_xor_b32_e32 v0, v0, v32
	v_lshl_add_u32 v32, v0, 4, 0
	s_barrier
	ds_write_b128 v60, v[3:6]
	ds_write_b128 v60, v[7:10] offset:4096
	ds_write_b128 v60, v[11:14] offset:8192
	;; [unrolled: 1-line block ×7, first 2 shown]
	s_waitcnt lgkmcnt(0)
	s_barrier
	ds_read_b128 v[3:6], v32
	ds_read_b128 v[7:10], v32 offset:4096
	ds_read_b128 v[11:14], v32 offset:8192
	;; [unrolled: 1-line block ×7, first 2 shown]
	s_waitcnt lgkmcnt(7)
	ds_bpermute_b32 v0, v1, v3
	ds_bpermute_b32 v31, v1, v4
	v_cndmask_b32_e64 v3, -v3, v3, s[14:15]
	v_cndmask_b32_e64 v4, -v4, v4, s[14:15]
	s_waitcnt lgkmcnt(0)
	v_add_f32_e32 v0, v3, v0
	ds_bpermute_b32 v3, v1, v5
	v_add_f32_e32 v4, v4, v31
	ds_bpermute_b32 v31, v1, v6
	v_cndmask_b32_e64 v5, -v5, v5, s[14:15]
	v_cndmask_b32_e64 v6, -v6, v6, s[14:15]
	s_waitcnt lgkmcnt(1)
	v_add_f32_e32 v5, v5, v3
	ds_bpermute_b32 v3, v1, v7
	s_waitcnt lgkmcnt(1)
	v_add_f32_e32 v6, v6, v31
	ds_bpermute_b32 v31, v1, v8
	v_cndmask_b32_e64 v7, -v7, v7, s[14:15]
	v_cndmask_b32_e64 v8, -v8, v8, s[14:15]
	s_waitcnt lgkmcnt(1)
	v_add_f32_e32 v7, v7, v3
	ds_bpermute_b32 v3, v1, v9
	s_waitcnt lgkmcnt(1)
	;; [unrolled: 8-line block ×14, first 2 shown]
	v_add_f32_e32 v31, v34, v31
	ds_bpermute_b32 v34, v1, v36
	v_cndmask_b32_e64 v35, -v35, v35, s[14:15]
	s_waitcnt lgkmcnt(0)
	s_barrier
	ds_write_b128 v60, v[37:40]
	ds_write_b128 v60, v[41:44] offset:4096
	ds_write_b128 v60, v[45:48] offset:8192
	;; [unrolled: 1-line block ×7, first 2 shown]
	s_waitcnt lgkmcnt(0)
	s_barrier
	ds_read_b128 v[37:40], v32
	ds_read_b128 v[41:44], v32 offset:4096
	ds_read_b128 v[45:48], v32 offset:8192
	;; [unrolled: 1-line block ×5, first 2 shown]
	v_add_f32_e32 v35, v35, v3
	s_waitcnt lgkmcnt(5)
	ds_bpermute_b32 v3, v1, v37
	v_cndmask_b32_e64 v36, -v36, v36, s[14:15]
	v_add_f32_e32 v36, v36, v34
	ds_bpermute_b32 v34, v1, v38
	v_cndmask_b32_e64 v37, -v37, v37, s[14:15]
	s_waitcnt lgkmcnt(1)
	v_add_f32_e32 v37, v37, v3
	ds_bpermute_b32 v3, v1, v39
	v_cndmask_b32_e64 v38, -v38, v38, s[14:15]
	s_waitcnt lgkmcnt(1)
	;; [unrolled: 4-line block ×21, first 2 shown]
	v_add_f32_e32 v57, v57, v3
	ds_bpermute_b32 v3, v1, v74
	ds_read_b128 v[76:79], v32 offset:24576
	ds_read_b128 v[80:83], v32 offset:28672
	v_cndmask_b32_e64 v58, -v73, v73, s[14:15]
	s_waitcnt lgkmcnt(3)
	v_add_f32_e32 v58, v58, v34
	ds_bpermute_b32 v34, v1, v75
	v_cndmask_b32_e64 v59, -v74, v74, s[14:15]
	s_waitcnt lgkmcnt(3)
	v_add_f32_e32 v59, v59, v3
	s_waitcnt lgkmcnt(2)
	ds_bpermute_b32 v3, v1, v76
	v_cndmask_b32_e64 v61, -v75, v75, s[14:15]
	s_waitcnt lgkmcnt(1)
	v_add_f32_e32 v61, v61, v34
	ds_bpermute_b32 v34, v1, v77
	v_cndmask_b32_e64 v62, -v76, v76, s[14:15]
	s_waitcnt lgkmcnt(1)
	v_add_f32_e32 v62, v62, v3
	;; [unrolled: 4-line block ×69, first 2 shown]
	v_cndmask_b32_e64 v31, -v74, v74, s[16:17]
	ds_bpermute_b32 v57, v2, v75
	s_waitcnt lgkmcnt(1)
	v_add_f32_e32 v104, v31, v0
	ds_bpermute_b32 v0, v2, v76
	ds_bpermute_b32 v2, v2, v1
	v_cndmask_b32_e64 v31, -v75, v75, s[16:17]
	s_waitcnt lgkmcnt(2)
	v_add_f32_e32 v105, v31, v57
	v_cndmask_b32_e64 v31, -v76, v76, s[16:17]
	s_waitcnt lgkmcnt(1)
	v_add_f32_e32 v106, v31, v0
	;; [unrolled: 3-line block ×3, first 2 shown]
	s_barrier
	ds_write_b128 v32, v[3:6]
	ds_write_b128 v32, v[7:10] offset:4096
	ds_write_b128 v32, v[11:14] offset:8192
	;; [unrolled: 1-line block ×7, first 2 shown]
	s_waitcnt lgkmcnt(0)
	s_barrier
	ds_read_b128 v[0:3], v60
	ds_read_b128 v[8:11], v60 offset:8192
	ds_read_b128 v[4:7], v60 offset:16384
	;; [unrolled: 1-line block ×7, first 2 shown]
	s_waitcnt lgkmcnt(0)
	s_barrier
	ds_write_b128 v32, v[37:40]
	ds_write_b128 v32, v[41:44] offset:4096
	ds_write_b128 v32, v[45:48] offset:8192
	;; [unrolled: 1-line block ×7, first 2 shown]
	s_waitcnt lgkmcnt(0)
	s_barrier
	ds_read_b128 v[32:35], v60
	ds_read_b128 v[40:43], v60 offset:8192
	ds_read_b128 v[36:39], v60 offset:4096
	;; [unrolled: 1-line block ×7, first 2 shown]
	s_mul_i32 s4, s26, s7
	s_mul_hi_u32 s5, s26, s6
	s_add_i32 s4, s5, s4
	s_mul_i32 s5, s27, s6
	s_add_i32 s5, s4, s5
	s_mul_i32 s4, s26, s6
	s_lshl_b64 s[4:5], s[4:5], 1
	s_add_u32 s4, s22, s4
	v_add_f32_e32 v80, v0, v8
	v_add_f32_e32 v81, v1, v9
	;; [unrolled: 1-line block ×16, first 2 shown]
	s_waitcnt lgkmcnt(6)
	v_add_f32_e32 v104, v32, v40
	v_add_f32_e32 v105, v33, v41
	v_add_f32_e32 v106, v34, v42
	v_add_f32_e32 v107, v35, v43
	s_waitcnt lgkmcnt(4)
	v_add_f32_e32 v108, v36, v44
	v_add_f32_e32 v109, v37, v45
	v_add_f32_e32 v110, v38, v46
	v_add_f32_e32 v111, v39, v47
	s_waitcnt lgkmcnt(2)
	v_add_f32_e32 v112, v56, v52
	v_add_f32_e32 v113, v57, v53
	v_add_f32_e32 v114, v58, v54
	v_add_f32_e32 v115, v59, v55
	s_waitcnt lgkmcnt(0)
	v_add_f32_e32 v116, v48, v60
	v_add_f32_e32 v117, v49, v61
	v_add_f32_e32 v118, v50, v62
	v_add_f32_e32 v119, v51, v63
	s_addc_u32 s5, s23, s5
	v_add_f32_e32 v72, v80, v82
	v_add_f32_e32 v73, v81, v83
	;; [unrolled: 1-line block ×16, first 2 shown]
	s_and_saveexec_b64 s[6:7], s[10:11]
	s_cbranch_execz .LBB24_18
; %bb.17:
	v_add_f32_e32 v120, v94, v78
	v_add_f32_e32 v121, v92, v76
	;; [unrolled: 1-line block ×8, first 2 shown]
	v_fma_mixlo_f16 v123, s24, v120, 0
	v_fma_mixlo_f16 v122, s24, v121, 0
	;; [unrolled: 1-line block ×4, first 2 shown]
	v_fma_mixhi_f16 v123, s24, v124, 0
	v_fma_mixhi_f16 v122, s24, v125, 0
	;; [unrolled: 1-line block ×4, first 2 shown]
	global_store_dwordx4 v70, v[120:123], s[4:5]
.LBB24_18:
	s_or_b64 exec, exec, s[6:7]
	v_sub_f32_e32 v70, v1, v9
	v_sub_f32_e32 v120, v0, v8
	v_sub_f32_e32 v121, v5, v13
	v_sub_f32_e32 v122, v4, v12
	v_sub_f32_e32 v123, v3, v11
	v_sub_f32_e32 v124, v2, v10
	v_sub_f32_e32 v125, v7, v15
	v_sub_f32_e32 v126, v6, v14
	v_sub_f32_e32 v127, v17, v21
	v_sub_f32_e32 v128, v16, v20
	v_sub_f32_e32 v129, v25, v29
	v_sub_f32_e32 v130, v24, v28
	v_sub_f32_e32 v131, v19, v23
	v_sub_f32_e32 v132, v18, v22
	v_sub_f32_e32 v133, v27, v31
	v_sub_f32_e32 v134, v26, v30
	v_sub_f32_e32 v41, v33, v41
	v_sub_f32_e32 v135, v32, v40
	v_sub_f32_e32 v43, v35, v43
	v_sub_f32_e32 v136, v34, v42
	v_sub_f32_e32 v45, v37, v45
	v_sub_f32_e32 v137, v36, v44
	v_sub_f32_e32 v47, v39, v47
	v_sub_f32_e32 v138, v38, v46
	v_sub_f32_e32 v40, v57, v53
	v_sub_f32_e32 v42, v56, v52
	v_sub_f32_e32 v44, v59, v55
	v_sub_f32_e32 v46, v58, v54
	v_sub_f32_e32 v49, v49, v61
	v_sub_f32_e32 v48, v48, v60
	v_sub_f32_e32 v51, v51, v63
	v_sub_f32_e32 v50, v50, v62
	v_add_f32_e32 v0, v120, v122
	v_add_f32_e32 v1, v70, v121
	;; [unrolled: 1-line block ×16, first 2 shown]
	s_and_saveexec_b64 s[6:7], s[2:3]
	s_cbranch_execz .LBB24_20
; %bb.19:
	v_add_f32_e32 v16, v8, v0
	v_add_f32_e32 v17, v10, v2
	;; [unrolled: 1-line block ×8, first 2 shown]
	v_fma_mixlo_f16 v16, s24, v16, 0
	v_fma_mixlo_f16 v17, s24, v17, 0
	v_fma_mixlo_f16 v18, s24, v18, 0
	v_fma_mixlo_f16 v19, s24, v19, 0
	v_fma_mixhi_f16 v19, s24, v23, 0
	v_fma_mixhi_f16 v18, s24, v22, 0
	;; [unrolled: 1-line block ×4, first 2 shown]
	global_store_dwordx4 v66, v[16:19], s[4:5]
.LBB24_20:
	s_or_b64 exec, exec, s[6:7]
	v_sub_f32_e32 v16, v80, v82
	v_sub_f32_e32 v17, v81, v83
	v_sub_f32_e32 v18, v84, v86
	v_sub_f32_e32 v19, v85, v87
	v_sub_f32_e32 v20, v96, v98
	v_sub_f32_e32 v21, v97, v99
	v_sub_f32_e32 v22, v100, v102
	v_sub_f32_e32 v23, v101, v103
	v_sub_f32_e32 v24, v104, v112
	v_sub_f32_e32 v25, v105, v113
	v_sub_f32_e32 v26, v106, v114
	v_sub_f32_e32 v27, v107, v115
	v_sub_f32_e32 v28, v108, v116
	v_sub_f32_e32 v29, v109, v117
	v_sub_f32_e32 v30, v110, v118
	v_sub_f32_e32 v31, v111, v119
	s_and_saveexec_b64 s[2:3], s[0:1]
	s_cbranch_execz .LBB24_22
; %bb.21:
	v_add_f32_e32 v32, v16, v24
	v_add_f32_e32 v33, v18, v26
	;; [unrolled: 1-line block ×8, first 2 shown]
	v_fma_mixlo_f16 v32, s24, v32, 0
	v_fma_mixlo_f16 v33, s24, v33, 0
	;; [unrolled: 1-line block ×4, first 2 shown]
	v_fma_mixhi_f16 v35, s24, v39, 0
	v_fma_mixhi_f16 v34, s24, v38, 0
	;; [unrolled: 1-line block ×4, first 2 shown]
	global_store_dwordx4 v65, v[32:35], s[4:5]
.LBB24_22:
	s_or_b64 exec, exec, s[2:3]
	v_sub_f32_e32 v32, v70, v121
	v_sub_f32_e32 v33, v120, v122
	;; [unrolled: 1-line block ×16, first 2 shown]
	s_and_saveexec_b64 s[0:1], vcc
	s_cbranch_execnz .LBB24_28
; %bb.23:
	s_or_b64 exec, exec, s[0:1]
	s_and_saveexec_b64 s[0:1], s[18:19]
	s_cbranch_execnz .LBB24_29
.LBB24_24:
	s_or_b64 exec, exec, s[0:1]
	s_and_saveexec_b64 s[0:1], s[20:21]
	s_cbranch_execnz .LBB24_30
.LBB24_25:
	s_or_b64 exec, exec, s[0:1]
	s_and_saveexec_b64 s[0:1], s[8:9]
	s_cbranch_execnz .LBB24_31
.LBB24_26:
	s_or_b64 exec, exec, s[0:1]
	s_and_saveexec_b64 s[0:1], s[12:13]
	s_cbranch_execnz .LBB24_32
.LBB24_27:
	s_endpgm
.LBB24_28:
	v_add_f32_e32 v48, v33, v41
	v_add_f32_e32 v49, v35, v43
	v_add_f32_e32 v50, v37, v45
	v_add_f32_e32 v51, v39, v47
	v_add_f32_e32 v52, v32, v40
	v_add_f32_e32 v53, v34, v42
	v_add_f32_e32 v54, v36, v44
	v_add_f32_e32 v55, v38, v46
	v_fma_mixlo_f16 v48, s24, v48, 0
	v_fma_mixlo_f16 v49, s24, v49, 0
	;; [unrolled: 1-line block ×4, first 2 shown]
	v_fma_mixhi_f16 v51, s24, v55, 0
	v_fma_mixhi_f16 v50, s24, v54, 0
	;; [unrolled: 1-line block ×4, first 2 shown]
	global_store_dwordx4 v64, v[48:51], s[4:5]
	s_or_b64 exec, exec, s[0:1]
	s_and_saveexec_b64 s[0:1], s[18:19]
	s_cbranch_execz .LBB24_24
.LBB24_29:
	v_sub_f32_e32 v48, v72, v88
	v_sub_f32_e32 v49, v74, v90
	;; [unrolled: 1-line block ×8, first 2 shown]
	v_fma_mixlo_f16 v48, s24, v48, 0
	v_fma_mixlo_f16 v49, s24, v49, 0
	;; [unrolled: 1-line block ×4, first 2 shown]
	v_fma_mixhi_f16 v51, s24, v55, 0
	v_fma_mixhi_f16 v50, s24, v54, 0
	;; [unrolled: 1-line block ×4, first 2 shown]
	global_store_dwordx4 v67, v[48:51], s[4:5]
	s_or_b64 exec, exec, s[0:1]
	s_and_saveexec_b64 s[0:1], s[20:21]
	s_cbranch_execz .LBB24_25
.LBB24_30:
	v_sub_f32_e32 v0, v0, v8
	v_sub_f32_e32 v8, v1, v9
	;; [unrolled: 1-line block ×8, first 2 shown]
	v_fma_mixlo_f16 v0, s24, v0, 0
	v_fma_mixlo_f16 v1, s24, v1, 0
	;; [unrolled: 1-line block ×4, first 2 shown]
	v_fma_mixhi_f16 v3, s24, v5, 0
	v_fma_mixhi_f16 v2, s24, v4, 0
	v_fma_mixhi_f16 v1, s24, v9, 0
	v_fma_mixhi_f16 v0, s24, v8, 0
	global_store_dwordx4 v68, v[0:3], s[4:5]
	s_or_b64 exec, exec, s[0:1]
	s_and_saveexec_b64 s[0:1], s[8:9]
	s_cbranch_execz .LBB24_26
.LBB24_31:
	v_sub_f32_e32 v0, v16, v24
	v_sub_f32_e32 v1, v18, v26
	;; [unrolled: 1-line block ×8, first 2 shown]
	v_fma_mixlo_f16 v0, s24, v0, 0
	v_fma_mixlo_f16 v1, s24, v1, 0
	;; [unrolled: 1-line block ×4, first 2 shown]
	v_fma_mixhi_f16 v3, s24, v7, 0
	v_fma_mixhi_f16 v2, s24, v6, 0
	;; [unrolled: 1-line block ×4, first 2 shown]
	global_store_dwordx4 v69, v[0:3], s[4:5]
	s_or_b64 exec, exec, s[0:1]
	s_and_saveexec_b64 s[0:1], s[12:13]
	s_cbranch_execz .LBB24_27
.LBB24_32:
	v_sub_f32_e32 v0, v33, v41
	v_sub_f32_e32 v1, v35, v43
	;; [unrolled: 1-line block ×8, first 2 shown]
	v_fma_mixlo_f16 v0, s24, v0, 0
	v_fma_mixlo_f16 v1, s24, v1, 0
	;; [unrolled: 1-line block ×4, first 2 shown]
	v_fma_mixhi_f16 v3, s24, v7, 0
	v_fma_mixhi_f16 v2, s24, v6, 0
	;; [unrolled: 1-line block ×4, first 2 shown]
	global_store_dwordx4 v71, v[0:3], s[4:5]
	s_endpgm
	.section	.rodata,"a",@progbits
	.p2align	6, 0x0
	.amdhsa_kernel _Z30fast_hadamard_transform_kernelI37fast_hadamard_transform_kernel_traitsILi256ELi14E6__halfEEv18HadamardParamsBase
		.amdhsa_group_segment_fixed_size 0
		.amdhsa_private_segment_fixed_size 0
		.amdhsa_kernarg_size 312
		.amdhsa_user_sgpr_count 6
		.amdhsa_user_sgpr_private_segment_buffer 1
		.amdhsa_user_sgpr_dispatch_ptr 0
		.amdhsa_user_sgpr_queue_ptr 0
		.amdhsa_user_sgpr_kernarg_segment_ptr 1
		.amdhsa_user_sgpr_dispatch_id 0
		.amdhsa_user_sgpr_flat_scratch_init 0
		.amdhsa_user_sgpr_private_segment_size 0
		.amdhsa_uses_dynamic_stack 0
		.amdhsa_system_sgpr_private_segment_wavefront_offset 0
		.amdhsa_system_sgpr_workgroup_id_x 1
		.amdhsa_system_sgpr_workgroup_id_y 0
		.amdhsa_system_sgpr_workgroup_id_z 0
		.amdhsa_system_sgpr_workgroup_info 0
		.amdhsa_system_vgpr_workitem_id 0
		.amdhsa_next_free_vgpr 139
		.amdhsa_next_free_sgpr 28
		.amdhsa_reserve_vcc 1
		.amdhsa_reserve_flat_scratch 0
		.amdhsa_float_round_mode_32 0
		.amdhsa_float_round_mode_16_64 0
		.amdhsa_float_denorm_mode_32 3
		.amdhsa_float_denorm_mode_16_64 3
		.amdhsa_dx10_clamp 1
		.amdhsa_ieee_mode 1
		.amdhsa_fp16_overflow 0
		.amdhsa_exception_fp_ieee_invalid_op 0
		.amdhsa_exception_fp_denorm_src 0
		.amdhsa_exception_fp_ieee_div_zero 0
		.amdhsa_exception_fp_ieee_overflow 0
		.amdhsa_exception_fp_ieee_underflow 0
		.amdhsa_exception_fp_ieee_inexact 0
		.amdhsa_exception_int_div_zero 0
	.end_amdhsa_kernel
	.section	.text._Z30fast_hadamard_transform_kernelI37fast_hadamard_transform_kernel_traitsILi256ELi14E6__halfEEv18HadamardParamsBase,"axG",@progbits,_Z30fast_hadamard_transform_kernelI37fast_hadamard_transform_kernel_traitsILi256ELi14E6__halfEEv18HadamardParamsBase,comdat
.Lfunc_end24:
	.size	_Z30fast_hadamard_transform_kernelI37fast_hadamard_transform_kernel_traitsILi256ELi14E6__halfEEv18HadamardParamsBase, .Lfunc_end24-_Z30fast_hadamard_transform_kernelI37fast_hadamard_transform_kernel_traitsILi256ELi14E6__halfEEv18HadamardParamsBase
                                        ; -- End function
	.set _Z30fast_hadamard_transform_kernelI37fast_hadamard_transform_kernel_traitsILi256ELi14E6__halfEEv18HadamardParamsBase.num_vgpr, 139
	.set _Z30fast_hadamard_transform_kernelI37fast_hadamard_transform_kernel_traitsILi256ELi14E6__halfEEv18HadamardParamsBase.num_agpr, 0
	.set _Z30fast_hadamard_transform_kernelI37fast_hadamard_transform_kernel_traitsILi256ELi14E6__halfEEv18HadamardParamsBase.numbered_sgpr, 28
	.set _Z30fast_hadamard_transform_kernelI37fast_hadamard_transform_kernel_traitsILi256ELi14E6__halfEEv18HadamardParamsBase.num_named_barrier, 0
	.set _Z30fast_hadamard_transform_kernelI37fast_hadamard_transform_kernel_traitsILi256ELi14E6__halfEEv18HadamardParamsBase.private_seg_size, 0
	.set _Z30fast_hadamard_transform_kernelI37fast_hadamard_transform_kernel_traitsILi256ELi14E6__halfEEv18HadamardParamsBase.uses_vcc, 1
	.set _Z30fast_hadamard_transform_kernelI37fast_hadamard_transform_kernel_traitsILi256ELi14E6__halfEEv18HadamardParamsBase.uses_flat_scratch, 0
	.set _Z30fast_hadamard_transform_kernelI37fast_hadamard_transform_kernel_traitsILi256ELi14E6__halfEEv18HadamardParamsBase.has_dyn_sized_stack, 0
	.set _Z30fast_hadamard_transform_kernelI37fast_hadamard_transform_kernel_traitsILi256ELi14E6__halfEEv18HadamardParamsBase.has_recursion, 0
	.set _Z30fast_hadamard_transform_kernelI37fast_hadamard_transform_kernel_traitsILi256ELi14E6__halfEEv18HadamardParamsBase.has_indirect_call, 0
	.section	.AMDGPU.csdata,"",@progbits
; Kernel info:
; codeLenInByte = 16496
; TotalNumSgprs: 32
; NumVgprs: 139
; ScratchSize: 0
; MemoryBound: 0
; FloatMode: 240
; IeeeMode: 1
; LDSByteSize: 0 bytes/workgroup (compile time only)
; SGPRBlocks: 3
; VGPRBlocks: 34
; NumSGPRsForWavesPerEU: 32
; NumVGPRsForWavesPerEU: 139
; Occupancy: 1
; WaveLimiterHint : 0
; COMPUTE_PGM_RSRC2:SCRATCH_EN: 0
; COMPUTE_PGM_RSRC2:USER_SGPR: 6
; COMPUTE_PGM_RSRC2:TRAP_HANDLER: 0
; COMPUTE_PGM_RSRC2:TGID_X_EN: 1
; COMPUTE_PGM_RSRC2:TGID_Y_EN: 0
; COMPUTE_PGM_RSRC2:TGID_Z_EN: 0
; COMPUTE_PGM_RSRC2:TIDIG_COMP_CNT: 0
	.section	.text._Z30fast_hadamard_transform_kernelI37fast_hadamard_transform_kernel_traitsILi256ELi15E6__halfEEv18HadamardParamsBase,"axG",@progbits,_Z30fast_hadamard_transform_kernelI37fast_hadamard_transform_kernel_traitsILi256ELi15E6__halfEEv18HadamardParamsBase,comdat
	.protected	_Z30fast_hadamard_transform_kernelI37fast_hadamard_transform_kernel_traitsILi256ELi15E6__halfEEv18HadamardParamsBase ; -- Begin function _Z30fast_hadamard_transform_kernelI37fast_hadamard_transform_kernel_traitsILi256ELi15E6__halfEEv18HadamardParamsBase
	.globl	_Z30fast_hadamard_transform_kernelI37fast_hadamard_transform_kernel_traitsILi256ELi15E6__halfEEv18HadamardParamsBase
	.p2align	8
	.type	_Z30fast_hadamard_transform_kernelI37fast_hadamard_transform_kernel_traitsILi256ELi15E6__halfEEv18HadamardParamsBase,@function
_Z30fast_hadamard_transform_kernelI37fast_hadamard_transform_kernel_traitsILi256ELi15E6__halfEEv18HadamardParamsBase: ; @_Z30fast_hadamard_transform_kernelI37fast_hadamard_transform_kernel_traitsILi256ELi15E6__halfEEv18HadamardParamsBase
; %bb.0:
	s_mov_b64 s[50:51], s[2:3]
	s_mov_b64 s[48:49], s[0:1]
	s_load_dwordx4 s[44:47], s[4:5], 0x10
	s_load_dword s33, s[4:5], 0x4
	s_load_dwordx4 s[40:43], s[4:5], 0x28
	s_add_u32 s48, s48, s7
	s_addc_u32 s49, s49, 0
	s_ashr_i32 s7, s6, 31
	s_waitcnt lgkmcnt(0)
	s_mul_hi_u32 s0, s44, s6
	s_mul_i32 s1, s44, s7
	s_add_i32 s0, s0, s1
	s_mul_i32 s1, s45, s6
	s_load_dword s2, s[4:5], 0x44
	s_add_i32 s1, s0, s1
	s_mul_i32 s0, s44, s6
	s_lshl_b64 s[0:1], s[0:1], 1
	s_add_u32 s30, s40, s0
	v_lshlrev_b32_e32 v1, 3, v0
	s_addc_u32 s31, s41, s1
	v_cmp_gt_u32_e64 s[28:29], s33, v1
	v_mov_b32_e32 v1, 0
	v_lshlrev_b32_e32 v146, 4, v0
	v_mov_b32_e32 v2, 0
	v_mov_b32_e32 v3, 0
	;; [unrolled: 1-line block ×8, first 2 shown]
	s_and_saveexec_b64 s[0:1], s[28:29]
	s_cbranch_execz .LBB25_2
; %bb.1:
	global_load_dwordx4 v[8:11], v146, s[30:31]
	s_waitcnt vmcnt(0)
	v_cvt_f32_f16_e32 v15, v8
	v_cvt_f32_f16_sdwa v14, v8 dst_sel:DWORD dst_unused:UNUSED_PAD src0_sel:WORD_1
	v_cvt_f32_f16_e32 v8, v9
	v_cvt_f32_f16_sdwa v7, v9 dst_sel:DWORD dst_unused:UNUSED_PAD src0_sel:WORD_1
	;; [unrolled: 2-line block ×4, first 2 shown]
.LBB25_2:
	s_or_b64 exec, exec, s[0:1]
	s_waitcnt lgkmcnt(0)
	s_and_b32 s40, 0xffff, s2
	v_add_u32_e32 v11, s40, v0
	v_lshlrev_b32_e32 v6, 3, v11
	v_cmp_gt_u32_e64 s[22:23], s33, v6
	v_lshlrev_b32_e32 v6, 4, v11
	buffer_store_dword v6, off, s[48:51], 0 offset:60 ; 4-byte Folded Spill
	v_mov_b32_e32 v6, 0
	v_mov_b32_e32 v9, 0
	v_mov_b32_e32 v10, 0
	v_mov_b32_e32 v16, 0
	v_mov_b32_e32 v17, 0
	v_mov_b32_e32 v21, 0
	v_mov_b32_e32 v22, 0
	s_and_saveexec_b64 s[0:1], s[22:23]
	s_cbranch_execz .LBB25_4
; %bb.3:
	v_lshlrev_b32_e32 v1, 4, v11
	global_load_dwordx4 v[17:20], v1, s[30:31]
	s_waitcnt vmcnt(0)
	v_cvt_f32_f16_e32 v22, v17
	v_cvt_f32_f16_sdwa v21, v17 dst_sel:DWORD dst_unused:UNUSED_PAD src0_sel:WORD_1
	v_cvt_f32_f16_e32 v17, v18
	v_cvt_f32_f16_sdwa v16, v18 dst_sel:DWORD dst_unused:UNUSED_PAD src0_sel:WORD_1
	v_cvt_f32_f16_e32 v10, v19
	v_cvt_f32_f16_sdwa v9, v19 dst_sel:DWORD dst_unused:UNUSED_PAD src0_sel:WORD_1
	v_cvt_f32_f16_e32 v6, v20
	v_cvt_f32_f16_sdwa v1, v20 dst_sel:DWORD dst_unused:UNUSED_PAD src0_sel:WORD_1
.LBB25_4:
	s_or_b64 exec, exec, s[0:1]
	v_add_u32_e32 v20, s40, v11
	v_lshlrev_b32_e32 v11, 3, v20
	v_lshlrev_b32_e32 v12, 4, v20
	v_cmp_gt_u32_e64 s[14:15], s33, v11
	v_mov_b32_e32 v11, 0
	buffer_store_dword v12, off, s[48:51], 0 offset:44 ; 4-byte Folded Spill
	v_mov_b32_e32 v12, 0
	v_mov_b32_e32 v13, 0
	v_mov_b32_e32 v18, 0
	v_mov_b32_e32 v19, 0
	v_mov_b32_e32 v23, 0
	v_mov_b32_e32 v24, 0
	v_mov_b32_e32 v30, 0
	v_mov_b32_e32 v31, 0
	s_and_saveexec_b64 s[0:1], s[14:15]
	s_cbranch_execz .LBB25_6
; %bb.5:
	v_lshlrev_b32_e32 v12, 4, v20
	global_load_dwordx4 v[24:27], v12, s[30:31]
	s_waitcnt vmcnt(0)
	v_cvt_f32_f16_e32 v31, v24
	v_cvt_f32_f16_sdwa v30, v24 dst_sel:DWORD dst_unused:UNUSED_PAD src0_sel:WORD_1
	v_cvt_f32_f16_e32 v24, v25
	v_cvt_f32_f16_sdwa v23, v25 dst_sel:DWORD dst_unused:UNUSED_PAD src0_sel:WORD_1
	v_cvt_f32_f16_e32 v19, v26
	v_cvt_f32_f16_sdwa v18, v26 dst_sel:DWORD dst_unused:UNUSED_PAD src0_sel:WORD_1
	v_cvt_f32_f16_e32 v13, v27
	v_cvt_f32_f16_sdwa v12, v27 dst_sel:DWORD dst_unused:UNUSED_PAD src0_sel:WORD_1
.LBB25_6:
	s_or_b64 exec, exec, s[0:1]
	v_add_u32_e32 v27, s40, v20
	v_lshlrev_b32_e32 v20, 3, v27
	v_cmp_gt_u32_e64 s[8:9], s33, v20
	v_lshlrev_b32_e32 v20, 4, v27
	buffer_store_dword v20, off, s[48:51], 0 offset:28 ; 4-byte Folded Spill
	v_mov_b32_e32 v20, 0
	v_mov_b32_e32 v25, 0
	v_mov_b32_e32 v26, 0
	v_mov_b32_e32 v32, 0
	v_mov_b32_e32 v33, 0
	v_mov_b32_e32 v37, 0
	v_mov_b32_e32 v38, 0
	s_and_saveexec_b64 s[0:1], s[8:9]
	s_cbranch_execz .LBB25_8
; %bb.7:
	v_lshlrev_b32_e32 v11, 4, v27
	global_load_dwordx4 v[33:36], v11, s[30:31]
	s_waitcnt vmcnt(0)
	v_cvt_f32_f16_e32 v38, v33
	v_cvt_f32_f16_sdwa v37, v33 dst_sel:DWORD dst_unused:UNUSED_PAD src0_sel:WORD_1
	v_cvt_f32_f16_e32 v33, v34
	v_cvt_f32_f16_sdwa v32, v34 dst_sel:DWORD dst_unused:UNUSED_PAD src0_sel:WORD_1
	v_cvt_f32_f16_e32 v26, v35
	v_cvt_f32_f16_sdwa v25, v35 dst_sel:DWORD dst_unused:UNUSED_PAD src0_sel:WORD_1
	v_cvt_f32_f16_e32 v20, v36
	v_cvt_f32_f16_sdwa v11, v36 dst_sel:DWORD dst_unused:UNUSED_PAD src0_sel:WORD_1
.LBB25_8:
	s_or_b64 exec, exec, s[0:1]
	v_add_u32_e32 v36, s40, v27
	v_lshlrev_b32_e32 v27, 3, v36
	v_lshlrev_b32_e32 v28, 4, v36
	v_cmp_gt_u32_e64 s[36:37], s33, v27
	v_mov_b32_e32 v27, 0
	buffer_store_dword v28, off, s[48:51], 0 offset:20 ; 4-byte Folded Spill
	v_mov_b32_e32 v28, 0
	v_mov_b32_e32 v29, 0
	v_mov_b32_e32 v34, 0
	v_mov_b32_e32 v35, 0
	v_mov_b32_e32 v39, 0
	v_mov_b32_e32 v40, 0
	v_mov_b32_e32 v46, 0
	v_mov_b32_e32 v47, 0
	s_and_saveexec_b64 s[0:1], s[36:37]
	s_cbranch_execz .LBB25_10
; %bb.9:
	v_lshlrev_b32_e32 v28, 4, v36
	global_load_dwordx4 v[40:43], v28, s[30:31]
	s_waitcnt vmcnt(0)
	v_cvt_f32_f16_e32 v47, v40
	v_cvt_f32_f16_sdwa v46, v40 dst_sel:DWORD dst_unused:UNUSED_PAD src0_sel:WORD_1
	v_cvt_f32_f16_e32 v40, v41
	v_cvt_f32_f16_sdwa v39, v41 dst_sel:DWORD dst_unused:UNUSED_PAD src0_sel:WORD_1
	v_cvt_f32_f16_e32 v35, v42
	v_cvt_f32_f16_sdwa v34, v42 dst_sel:DWORD dst_unused:UNUSED_PAD src0_sel:WORD_1
	v_cvt_f32_f16_e32 v29, v43
	v_cvt_f32_f16_sdwa v28, v43 dst_sel:DWORD dst_unused:UNUSED_PAD src0_sel:WORD_1
.LBB25_10:
	s_or_b64 exec, exec, s[0:1]
	v_add_u32_e32 v43, s40, v36
	v_lshlrev_b32_e32 v36, 3, v43
	v_cmp_gt_u32_e64 s[2:3], s33, v36
	v_lshlrev_b32_e32 v36, 4, v43
	buffer_store_dword v36, off, s[48:51], 0 offset:16 ; 4-byte Folded Spill
	v_mov_b32_e32 v36, 0
	v_mov_b32_e32 v41, 0
	v_mov_b32_e32 v42, 0
	v_mov_b32_e32 v48, 0
	v_mov_b32_e32 v49, 0
	v_mov_b32_e32 v53, 0
	v_mov_b32_e32 v54, 0
	s_and_saveexec_b64 s[0:1], s[2:3]
	s_cbranch_execz .LBB25_12
; %bb.11:
	v_lshlrev_b32_e32 v27, 4, v43
	global_load_dwordx4 v[49:52], v27, s[30:31]
	s_waitcnt vmcnt(0)
	v_cvt_f32_f16_e32 v54, v49
	v_cvt_f32_f16_sdwa v53, v49 dst_sel:DWORD dst_unused:UNUSED_PAD src0_sel:WORD_1
	v_cvt_f32_f16_e32 v49, v50
	v_cvt_f32_f16_sdwa v48, v50 dst_sel:DWORD dst_unused:UNUSED_PAD src0_sel:WORD_1
	v_cvt_f32_f16_e32 v42, v51
	v_cvt_f32_f16_sdwa v41, v51 dst_sel:DWORD dst_unused:UNUSED_PAD src0_sel:WORD_1
	v_cvt_f32_f16_e32 v36, v52
	v_cvt_f32_f16_sdwa v27, v52 dst_sel:DWORD dst_unused:UNUSED_PAD src0_sel:WORD_1
.LBB25_12:
	s_or_b64 exec, exec, s[0:1]
	v_add_u32_e32 v52, s40, v43
	v_lshlrev_b32_e32 v43, 3, v52
	v_lshlrev_b32_e32 v44, 4, v52
	v_cmp_gt_u32_e64 s[0:1], s33, v43
	v_mov_b32_e32 v43, 0
	buffer_store_dword v44, off, s[48:51], 0 offset:12 ; 4-byte Folded Spill
	v_mov_b32_e32 v44, 0
	v_mov_b32_e32 v45, 0
	v_mov_b32_e32 v50, 0
	v_mov_b32_e32 v51, 0
	v_mov_b32_e32 v55, 0
	v_mov_b32_e32 v56, 0
	v_mov_b32_e32 v62, 0
	v_mov_b32_e32 v63, 0
	s_and_saveexec_b64 s[10:11], s[0:1]
	s_cbranch_execz .LBB25_14
; %bb.13:
	v_lshlrev_b32_e32 v44, 4, v52
	global_load_dwordx4 v[56:59], v44, s[30:31]
	s_waitcnt vmcnt(0)
	v_cvt_f32_f16_e32 v63, v56
	v_cvt_f32_f16_sdwa v62, v56 dst_sel:DWORD dst_unused:UNUSED_PAD src0_sel:WORD_1
	v_cvt_f32_f16_e32 v56, v57
	v_cvt_f32_f16_sdwa v55, v57 dst_sel:DWORD dst_unused:UNUSED_PAD src0_sel:WORD_1
	v_cvt_f32_f16_e32 v51, v58
	v_cvt_f32_f16_sdwa v50, v58 dst_sel:DWORD dst_unused:UNUSED_PAD src0_sel:WORD_1
	v_cvt_f32_f16_e32 v45, v59
	v_cvt_f32_f16_sdwa v44, v59 dst_sel:DWORD dst_unused:UNUSED_PAD src0_sel:WORD_1
.LBB25_14:
	s_or_b64 exec, exec, s[10:11]
	v_add_u32_e32 v59, s40, v52
	v_lshlrev_b32_e32 v52, 3, v59
	v_cmp_gt_u32_e32 vcc, s33, v52
	v_lshlrev_b32_e32 v52, 4, v59
	buffer_store_dword v52, off, s[48:51], 0 offset:8 ; 4-byte Folded Spill
	v_mov_b32_e32 v52, 0
	v_mov_b32_e32 v57, 0
	;; [unrolled: 1-line block ×7, first 2 shown]
	s_and_saveexec_b64 s[10:11], vcc
	s_cbranch_execz .LBB25_16
; %bb.15:
	v_lshlrev_b32_e32 v43, 4, v59
	global_load_dwordx4 v[65:68], v43, s[30:31]
	s_waitcnt vmcnt(0)
	v_cvt_f32_f16_e32 v70, v65
	v_cvt_f32_f16_sdwa v69, v65 dst_sel:DWORD dst_unused:UNUSED_PAD src0_sel:WORD_1
	v_cvt_f32_f16_e32 v65, v66
	v_cvt_f32_f16_sdwa v64, v66 dst_sel:DWORD dst_unused:UNUSED_PAD src0_sel:WORD_1
	;; [unrolled: 2-line block ×4, first 2 shown]
.LBB25_16:
	s_or_b64 exec, exec, s[10:11]
	v_add_u32_e32 v68, s40, v59
	v_lshlrev_b32_e32 v59, 3, v68
	v_lshlrev_b32_e32 v60, 4, v68
	v_cmp_gt_u32_e64 s[38:39], s33, v59
	v_mov_b32_e32 v59, 0
	buffer_store_dword v60, off, s[48:51], 0 offset:24 ; 4-byte Folded Spill
	v_mov_b32_e32 v60, 0
	v_mov_b32_e32 v61, 0
	;; [unrolled: 1-line block ×8, first 2 shown]
	s_and_saveexec_b64 s[10:11], s[38:39]
	s_cbranch_execz .LBB25_18
; %bb.17:
	v_lshlrev_b32_e32 v60, 4, v68
	global_load_dwordx4 v[72:75], v60, s[30:31]
	s_waitcnt vmcnt(0)
	v_cvt_f32_f16_e32 v79, v72
	v_cvt_f32_f16_sdwa v78, v72 dst_sel:DWORD dst_unused:UNUSED_PAD src0_sel:WORD_1
	v_cvt_f32_f16_e32 v72, v73
	v_cvt_f32_f16_sdwa v71, v73 dst_sel:DWORD dst_unused:UNUSED_PAD src0_sel:WORD_1
	;; [unrolled: 2-line block ×4, first 2 shown]
.LBB25_18:
	s_or_b64 exec, exec, s[10:11]
	v_add_u32_e32 v75, s40, v68
	v_lshlrev_b32_e32 v68, 3, v75
	v_cmp_gt_u32_e64 s[10:11], s33, v68
	v_lshlrev_b32_e32 v68, 4, v75
	buffer_store_dword v68, off, s[48:51], 0 offset:32 ; 4-byte Folded Spill
	v_mov_b32_e32 v68, 0
	v_mov_b32_e32 v73, 0
	;; [unrolled: 1-line block ×7, first 2 shown]
	s_and_saveexec_b64 s[12:13], s[10:11]
	s_cbranch_execz .LBB25_20
; %bb.19:
	v_lshlrev_b32_e32 v59, 4, v75
	global_load_dwordx4 v[81:84], v59, s[30:31]
	s_waitcnt vmcnt(0)
	v_cvt_f32_f16_e32 v86, v81
	v_cvt_f32_f16_sdwa v85, v81 dst_sel:DWORD dst_unused:UNUSED_PAD src0_sel:WORD_1
	v_cvt_f32_f16_e32 v81, v82
	v_cvt_f32_f16_sdwa v80, v82 dst_sel:DWORD dst_unused:UNUSED_PAD src0_sel:WORD_1
	;; [unrolled: 2-line block ×4, first 2 shown]
.LBB25_20:
	s_or_b64 exec, exec, s[12:13]
	v_add_u32_e32 v84, s40, v75
	v_lshlrev_b32_e32 v75, 3, v84
	v_lshlrev_b32_e32 v76, 4, v84
	v_cmp_gt_u32_e64 s[12:13], s33, v75
	v_mov_b32_e32 v75, 0
	buffer_store_dword v76, off, s[48:51], 0 offset:36 ; 4-byte Folded Spill
	v_mov_b32_e32 v76, 0
	v_mov_b32_e32 v77, 0
	;; [unrolled: 1-line block ×8, first 2 shown]
	s_and_saveexec_b64 s[16:17], s[12:13]
	s_cbranch_execz .LBB25_22
; %bb.21:
	v_lshlrev_b32_e32 v76, 4, v84
	global_load_dwordx4 v[88:91], v76, s[30:31]
	s_waitcnt vmcnt(0)
	v_cvt_f32_f16_e32 v95, v88
	v_cvt_f32_f16_sdwa v94, v88 dst_sel:DWORD dst_unused:UNUSED_PAD src0_sel:WORD_1
	v_cvt_f32_f16_e32 v88, v89
	v_cvt_f32_f16_sdwa v87, v89 dst_sel:DWORD dst_unused:UNUSED_PAD src0_sel:WORD_1
	;; [unrolled: 2-line block ×4, first 2 shown]
.LBB25_22:
	s_or_b64 exec, exec, s[16:17]
	v_add_u32_e32 v91, s40, v84
	v_lshlrev_b32_e32 v84, 3, v91
	v_cmp_gt_u32_e64 s[16:17], s33, v84
	v_lshlrev_b32_e32 v84, 4, v91
	buffer_store_dword v84, off, s[48:51], 0 offset:40 ; 4-byte Folded Spill
	v_mov_b32_e32 v84, 0
	v_mov_b32_e32 v89, 0
	;; [unrolled: 1-line block ×7, first 2 shown]
	s_and_saveexec_b64 s[18:19], s[16:17]
	s_cbranch_execz .LBB25_24
; %bb.23:
	v_lshlrev_b32_e32 v75, 4, v91
	global_load_dwordx4 v[102:105], v75, s[30:31]
	s_waitcnt vmcnt(0)
	v_cvt_f32_f16_e32 v101, v102
	v_cvt_f32_f16_sdwa v100, v102 dst_sel:DWORD dst_unused:UNUSED_PAD src0_sel:WORD_1
	v_cvt_f32_f16_e32 v97, v103
	v_cvt_f32_f16_sdwa v96, v103 dst_sel:DWORD dst_unused:UNUSED_PAD src0_sel:WORD_1
	;; [unrolled: 2-line block ×4, first 2 shown]
.LBB25_24:
	s_or_b64 exec, exec, s[18:19]
	v_add_u32_e32 v102, s40, v91
	v_lshlrev_b32_e32 v91, 3, v102
	v_cmp_gt_u32_e64 s[18:19], s33, v91
	v_lshlrev_b32_e32 v91, 4, v102
	v_mov_b32_e32 v93, 0
	buffer_store_dword v91, off, s[48:51], 0 offset:48 ; 4-byte Folded Spill
	v_mov_b32_e32 v91, 0
	v_mov_b32_e32 v92, 0
	;; [unrolled: 1-line block ×8, first 2 shown]
	s_and_saveexec_b64 s[20:21], s[18:19]
	s_cbranch_execz .LBB25_26
; %bb.25:
	v_lshlrev_b32_e32 v91, 4, v102
	global_load_dwordx4 v[109:112], v91, s[30:31]
	s_waitcnt vmcnt(0)
	v_cvt_f32_f16_e32 v108, v109
	v_cvt_f32_f16_sdwa v107, v109 dst_sel:DWORD dst_unused:UNUSED_PAD src0_sel:WORD_1
	v_cvt_f32_f16_e32 v104, v110
	v_cvt_f32_f16_sdwa v103, v110 dst_sel:DWORD dst_unused:UNUSED_PAD src0_sel:WORD_1
	;; [unrolled: 2-line block ×4, first 2 shown]
.LBB25_26:
	s_or_b64 exec, exec, s[20:21]
	v_add_u32_e32 v109, s40, v102
	v_lshlrev_b32_e32 v102, 3, v109
	v_cmp_gt_u32_e64 s[20:21], s33, v102
	v_mov_b32_e32 v102, 0
	v_mov_b32_e32 v105, 0
	;; [unrolled: 1-line block ×7, first 2 shown]
	s_and_saveexec_b64 s[26:27], s[20:21]
	s_cbranch_execz .LBB25_28
; %bb.27:
	v_mov_b32_e32 v110, 0
	v_lshlrev_b64 v[105:106], 4, v[109:110]
	v_mov_b32_e32 v93, s31
	v_add_co_u32_e64 v105, s[24:25], s30, v105
	v_addc_co_u32_e64 v106, s[24:25], v93, v106, s[24:25]
	global_load_dwordx4 v[118:121], v[105:106], off
	s_waitcnt vmcnt(0)
	v_cvt_f32_f16_e32 v117, v118
	v_cvt_f32_f16_sdwa v116, v118 dst_sel:DWORD dst_unused:UNUSED_PAD src0_sel:WORD_1
	v_cvt_f32_f16_e32 v113, v119
	v_cvt_f32_f16_sdwa v112, v119 dst_sel:DWORD dst_unused:UNUSED_PAD src0_sel:WORD_1
	;; [unrolled: 2-line block ×4, first 2 shown]
.LBB25_28:
	s_or_b64 exec, exec, s[26:27]
	v_mov_b32_e32 v110, v109
	v_add_u32_e32 v118, s40, v109
	buffer_store_dword v110, off, s[48:51], 0 offset:52 ; 4-byte Folded Spill
	s_nop 0
	buffer_store_dword v111, off, s[48:51], 0 offset:56 ; 4-byte Folded Spill
	v_lshlrev_b32_e32 v109, 3, v118
	v_cmp_gt_u32_e64 s[24:25], s33, v109
	v_mov_b32_e32 v109, 0
	v_mov_b32_e32 v110, 0
	;; [unrolled: 1-line block ×9, first 2 shown]
	s_and_saveexec_b64 s[34:35], s[24:25]
	s_cbranch_execz .LBB25_30
; %bb.29:
	v_mov_b32_e32 v119, 0
	v_lshlrev_b64 v[110:111], 4, v[118:119]
	v_mov_b32_e32 v114, s31
	v_add_co_u32_e64 v110, s[26:27], s30, v110
	v_addc_co_u32_e64 v111, s[26:27], v114, v111, s[26:27]
	global_load_dwordx4 v[125:128], v[110:111], off
	s_waitcnt vmcnt(0)
	v_cvt_f32_f16_e32 v124, v125
	v_cvt_f32_f16_sdwa v123, v125 dst_sel:DWORD dst_unused:UNUSED_PAD src0_sel:WORD_1
	v_cvt_f32_f16_e32 v120, v126
	v_cvt_f32_f16_sdwa v119, v126 dst_sel:DWORD dst_unused:UNUSED_PAD src0_sel:WORD_1
	;; [unrolled: 2-line block ×4, first 2 shown]
.LBB25_30:
	s_or_b64 exec, exec, s[34:35]
	v_mov_b32_e32 v121, v118
	buffer_store_dword v121, off, s[48:51], 0 offset:64 ; 4-byte Folded Spill
	s_nop 0
	buffer_store_dword v122, off, s[48:51], 0 offset:68 ; 4-byte Folded Spill
	v_add_u32_e32 v121, s40, v118
	v_mov_b32_e32 v118, v121
	buffer_store_dword v118, off, s[48:51], 0 ; 4-byte Folded Spill
	s_nop 0
	buffer_store_dword v119, off, s[48:51], 0 offset:4 ; 4-byte Folded Spill
	v_lshlrev_b32_e32 v118, 3, v121
	v_cmp_gt_u32_e64 s[26:27], s33, v118
	v_mov_b32_e32 v118, 0
	v_mov_b32_e32 v121, 0
	;; [unrolled: 1-line block ×7, first 2 shown]
	s_and_saveexec_b64 s[34:35], s[26:27]
	s_cbranch_execz .LBB25_32
; %bb.31:
	buffer_load_dword v121, off, s[48:51], 0 ; 4-byte Folded Reload
	buffer_load_dword v122, off, s[48:51], 0 offset:4 ; 4-byte Folded Reload
	s_waitcnt vmcnt(0)
	v_mov_b32_e32 v122, 0
	v_mov_b32_e32 v109, v121
	v_lshlrev_b64 v[121:122], 4, v[121:122]
	buffer_store_dword v109, off, s[48:51], 0 ; 4-byte Folded Spill
	s_nop 0
	buffer_store_dword v110, off, s[48:51], 0 offset:4 ; 4-byte Folded Spill
	v_mov_b32_e32 v109, s31
	v_add_co_u32_e64 v121, s[30:31], s30, v121
	v_addc_co_u32_e64 v122, s[30:31], v109, v122, s[30:31]
	global_load_dwordx4 v[129:132], v[121:122], off
	s_waitcnt vmcnt(0)
	v_cvt_f32_f16_e32 v128, v129
	v_cvt_f32_f16_sdwa v127, v129 dst_sel:DWORD dst_unused:UNUSED_PAD src0_sel:WORD_1
	v_cvt_f32_f16_e32 v126, v130
	v_cvt_f32_f16_sdwa v125, v130 dst_sel:DWORD dst_unused:UNUSED_PAD src0_sel:WORD_1
	;; [unrolled: 2-line block ×4, first 2 shown]
.LBB25_32:
	s_or_b64 exec, exec, s[34:35]
	v_add_f32_e32 v129, v15, v14
	v_sub_f32_e32 v14, v15, v14
	v_add_f32_e32 v15, v22, v21
	v_sub_f32_e32 v21, v22, v21
	;; [unrolled: 2-line block ×78, first 2 shown]
	v_add_f32_e32 v108, v113, v117
	v_add_f32_e32 v133, v120, v124
	v_sub_f32_e32 v120, v124, v120
	v_add_f32_e32 v124, v14, v7
	v_sub_f32_e32 v14, v14, v7
	;; [unrolled: 2-line block ×43, first 2 shown]
	v_sub_f32_e32 v59, v73, v59
	v_add_f32_e32 v73, v82, v76
	v_sub_f32_e32 v76, v82, v76
	v_add_f32_e32 v82, v89, v75
	;; [unrolled: 2-line block ×18, first 2 shown]
	v_sub_f32_e32 v33, v16, v1
	v_mbcnt_lo_u32_b32 v1, -1, 0
	v_mbcnt_hi_u32_b32 v1, -1, v1
	v_add_f32_e32 v141, v97, v118
	v_sub_f32_e32 v142, v118, v97
	v_add_f32_e32 v143, v101, v129
	v_sub_f32_e32 v144, v129, v101
	;; [unrolled: 2-line block ×6, first 2 shown]
	v_and_b32_e32 v2, 64, v1
	v_add_u32_e32 v2, 64, v2
	v_xor_b32_e32 v15, 1, v1
	s_load_dword s33, s[4:5], 0x20
	v_cmp_lt_i32_e64 s[4:5], v15, v2
	v_cndmask_b32_e64 v15, v1, v15, s[4:5]
	v_add_f32_e32 v137, v114, v110
	v_sub_f32_e32 v138, v114, v110
	v_add_f32_e32 v154, v10, v38
	v_sub_f32_e32 v155, v38, v10
	;; [unrolled: 2-line block ×7, first 2 shown]
	v_lshlrev_b32_e32 v45, 2, v15
	v_add_f32_e32 v150, v5, v22
	v_sub_f32_e32 v151, v22, v5
	v_add_f32_e32 v22, v102, v124
	ds_bpermute_b32 v15, v45, v141
	v_add_f32_e32 v162, v51, v70
	v_sub_f32_e32 v163, v70, v51
	v_add_f32_e32 v67, v34, v46
	v_sub_f32_e32 v70, v46, v34
	v_add_f32_e32 v41, v17, v127
	v_sub_f32_e32 v46, v17, v127
	ds_bpermute_b32 v17, v45, v22
	v_and_b32_e32 v16, 1, v0
	v_add_f32_e32 v156, v13, v47
	v_sub_f32_e32 v157, v47, v13
	v_add_f32_e32 v160, v42, v63
	v_sub_f32_e32 v161, v63, v42
	;; [unrolled: 2-line block ×3, first 2 shown]
	v_add_f32_e32 v21, v128, v123
	v_cmp_eq_u32_e64 s[30:31], 0, v16
	v_sub_f32_e32 v31, v124, v102
	v_add_f32_e32 v133, v73, v85
	v_sub_f32_e32 v102, v85, v73
	v_add_f32_e32 v82, v56, v36
	;; [unrolled: 2-line block ×3, first 2 shown]
	v_sub_f32_e32 v40, v23, v18
	v_cndmask_b32_e64 v16, -v141, v141, s[30:31]
	ds_bpermute_b32 v18, v45, v21
	s_waitcnt lgkmcnt(0)
	v_add_f32_e32 v15, v16, v15
	v_cndmask_b32_e64 v16, -v22, v22, s[30:31]
	ds_bpermute_b32 v20, v45, v19
	v_add_f32_e32 v16, v16, v17
	v_cndmask_b32_e64 v17, -v21, v21, s[30:31]
	ds_bpermute_b32 v21, v45, v142
	v_add_f32_e32 v17, v17, v18
	v_cndmask_b32_e64 v18, -v19, v19, s[30:31]
	v_add_f32_e32 v51, v115, v30
	v_sub_f32_e32 v54, v30, v115
	v_sub_f32_e32 v30, v128, v123
	s_waitcnt lgkmcnt(1)
	v_add_f32_e32 v18, v18, v20
	ds_bpermute_b32 v20, v45, v31
	v_cndmask_b32_e64 v19, -v142, v142, s[30:31]
	s_waitcnt lgkmcnt(1)
	v_add_f32_e32 v19, v19, v21
	ds_bpermute_b32 v21, v45, v30
	v_cndmask_b32_e64 v22, -v31, v31, s[30:31]
	;; [unrolled: 4-line block ×4, first 2 shown]
	v_add_f32_e32 v122, v98, v107
	v_sub_f32_e32 v125, v107, v98
	v_add_f32_e32 v34, v8, v126
	v_add_f32_e32 v73, v49, v29
	v_sub_f32_e32 v78, v49, v29
	v_add_f32_e32 v98, v72, v52
	v_sub_f32_e32 v100, v72, v52
	;; [unrolled: 2-line block ×3, first 2 shown]
	s_waitcnt lgkmcnt(1)
	v_add_f32_e32 v22, v24, v22
	ds_bpermute_b32 v24, v45, v35
	v_cndmask_b32_e64 v25, -v143, v143, s[30:31]
	s_waitcnt lgkmcnt(1)
	v_add_f32_e32 v23, v25, v23
	ds_bpermute_b32 v25, v45, v34
	v_add_f32_e32 v13, v137, v116
	v_sub_f32_e32 v10, v116, v137
	v_add_f32_e32 v137, v88, v68
	v_sub_f32_e32 v111, v88, v68
	;; [unrolled: 2-line block ×3, first 2 shown]
	v_cndmask_b32_e64 v27, -v35, v35, s[30:31]
	v_add_f32_e32 v107, v81, v61
	v_sub_f32_e32 v128, v81, v61
	v_add_f32_e32 v61, v39, v28
	v_sub_f32_e32 v65, v39, v28
	s_waitcnt lgkmcnt(1)
	v_add_f32_e32 v24, v27, v24
	ds_bpermute_b32 v27, v45, v26
	v_cndmask_b32_e64 v28, -v34, v34, s[30:31]
	s_waitcnt lgkmcnt(1)
	v_add_f32_e32 v25, v28, v25
	ds_bpermute_b32 v28, v45, v144
	v_add_f32_e32 v58, v11, v37
	v_sub_f32_e32 v63, v37, v11
	v_sub_f32_e32 v37, v8, v126
	ds_bpermute_b32 v29, v45, v38
	ds_bpermute_b32 v30, v45, v37
	v_cndmask_b32_e64 v26, -v26, v26, s[30:31]
	s_waitcnt lgkmcnt(3)
	v_add_f32_e32 v26, v26, v27
	v_cndmask_b32_e64 v27, -v144, v144, s[30:31]
	s_waitcnt lgkmcnt(2)
	v_add_f32_e32 v27, v27, v28
	v_cndmask_b32_e64 v28, -v38, v38, s[30:31]
	ds_bpermute_b32 v31, v45, v33
	s_waitcnt lgkmcnt(2)
	v_add_f32_e32 v28, v28, v29
	v_cndmask_b32_e64 v29, -v37, v37, s[30:31]
	ds_bpermute_b32 v32, v45, v145
	;; [unrolled: 4-line block ×3, first 2 shown]
	ds_bpermute_b32 v34, v45, v41
	s_waitcnt lgkmcnt(3)
	v_add_f32_e32 v30, v30, v31
	v_cndmask_b32_e64 v31, -v145, v145, s[30:31]
	s_waitcnt lgkmcnt(2)
	v_add_f32_e32 v31, v31, v32
	v_cndmask_b32_e64 v32, -v42, v42, s[30:31]
	ds_bpermute_b32 v35, v45, v36
	s_waitcnt lgkmcnt(2)
	v_add_f32_e32 v32, v32, v33
	v_cndmask_b32_e64 v33, -v41, v41, s[30:31]
	ds_bpermute_b32 v37, v45, v149
	;; [unrolled: 4-line block ×3, first 2 shown]
	s_waitcnt lgkmcnt(2)
	v_add_f32_e32 v34, v34, v35
	v_cndmask_b32_e64 v35, -v149, v149, s[30:31]
	s_waitcnt lgkmcnt(1)
	v_add_f32_e32 v35, v35, v37
	ds_bpermute_b32 v37, v45, v46
	v_cndmask_b32_e64 v38, -v47, v47, s[30:31]
	s_waitcnt lgkmcnt(1)
	v_add_f32_e32 v36, v38, v36
	ds_bpermute_b32 v38, v45, v40
	;; [unrolled: 4-line block ×6, first 2 shown]
	v_add_f32_e32 v123, v104, v84
	v_sub_f32_e32 v126, v104, v84
	v_add_f32_e32 v84, v64, v43
	v_sub_f32_e32 v88, v64, v43
	v_cndmask_b32_e64 v43, -v50, v50, s[30:31]
	v_add_f32_e32 v7, v139, v119
	v_sub_f32_e32 v5, v119, v139
	v_add_f32_e32 v115, v130, v77
	v_sub_f32_e32 v119, v130, v77
	;; [unrolled: 2-line block ×3, first 2 shown]
	s_waitcnt lgkmcnt(1)
	v_add_f32_e32 v41, v43, v41
	ds_bpermute_b32 v43, v45, v151
	v_cndmask_b32_e64 v44, -v49, v49, s[30:31]
	s_waitcnt lgkmcnt(1)
	v_add_f32_e32 v42, v44, v42
	ds_bpermute_b32 v44, v45, v54
	v_cndmask_b32_e64 v46, -v151, v151, s[30:31]
	;; [unrolled: 4-line block ×13, first 2 shown]
	s_waitcnt lgkmcnt(1)
	v_add_f32_e32 v55, v58, v55
	ds_bpermute_b32 v58, v45, v67
	v_add_f32_e32 v129, v132, v92
	v_sub_f32_e32 v56, v132, v92
	v_add_f32_e32 v130, v80, v59
	v_sub_f32_e32 v132, v80, v59
	v_cndmask_b32_e64 v59, -v154, v154, s[30:31]
	v_add_f32_e32 v92, v71, v60
	v_sub_f32_e32 v104, v71, v60
	s_waitcnt lgkmcnt(1)
	v_add_f32_e32 v57, v59, v57
	ds_bpermute_b32 v59, v45, v66
	v_cndmask_b32_e64 v60, -v67, v67, s[30:31]
	s_waitcnt lgkmcnt(1)
	v_add_f32_e32 v58, v60, v58
	ds_bpermute_b32 v60, v45, v68
	v_cndmask_b32_e64 v61, -v66, v66, s[30:31]
	;; [unrolled: 4-line block ×15, first 2 shown]
	s_waitcnt lgkmcnt(1)
	v_add_f32_e32 v72, v74, v72
	ds_bpermute_b32 v74, v45, v83
	v_add_f32_e32 v164, v96, v75
	v_sub_f32_e32 v165, v96, v75
	v_cndmask_b32_e64 v75, -v158, v158, s[30:31]
	v_add_f32_e32 v11, v120, v136
	v_sub_f32_e32 v8, v120, v136
	v_add_f32_e32 v136, v87, v76
	v_sub_f32_e32 v139, v87, v76
	s_waitcnt lgkmcnt(1)
	v_add_f32_e32 v73, v75, v73
	ds_bpermute_b32 v75, v45, v82
	v_cndmask_b32_e64 v76, -v83, v83, s[30:31]
	s_waitcnt lgkmcnt(1)
	v_add_f32_e32 v74, v76, v74
	ds_bpermute_b32 v76, v45, v84
	v_cndmask_b32_e64 v77, -v82, v82, s[30:31]
	;; [unrolled: 4-line block ×15, first 2 shown]
	s_waitcnt lgkmcnt(1)
	v_add_f32_e32 v88, v90, v88
	ds_bpermute_b32 v90, v45, v99
	v_add_f32_e32 v116, v103, v91
	v_sub_f32_e32 v120, v103, v91
	v_cndmask_b32_e64 v91, -v162, v162, s[30:31]
	s_waitcnt lgkmcnt(1)
	v_add_f32_e32 v89, v91, v89
	ds_bpermute_b32 v91, v45, v98
	v_cndmask_b32_e64 v92, -v99, v99, s[30:31]
	s_waitcnt lgkmcnt(1)
	v_add_f32_e32 v90, v92, v90
	ds_bpermute_b32 v92, v45, v130
	v_add_f32_e32 v124, v112, v93
	v_sub_f32_e32 v127, v112, v93
	v_cndmask_b32_e64 v93, -v98, v98, s[30:31]
	s_waitcnt lgkmcnt(1)
	v_add_f32_e32 v91, v93, v91
	ds_bpermute_b32 v93, v45, v163
	v_cndmask_b32_e64 v94, -v130, v130, s[30:31]
	s_waitcnt lgkmcnt(1)
	v_add_f32_e32 v92, v94, v92
	ds_bpermute_b32 v94, v45, v108
	;; [unrolled: 4-line block ×6, first 2 shown]
	ds_bpermute_b32 v100, v45, v107
	ds_bpermute_b32 v103, v45, v136
	v_cndmask_b32_e64 v97, -v97, v97, s[30:31]
	ds_bpermute_b32 v104, v45, v101
	s_waitcnt lgkmcnt(4)
	v_add_f32_e32 v97, v97, v98
	v_cndmask_b32_e64 v98, -v133, v133, s[30:31]
	s_waitcnt lgkmcnt(3)
	v_add_f32_e32 v98, v98, v99
	v_cndmask_b32_e64 v99, -v107, v107, s[30:31]
	;; [unrolled: 3-line block ×3, first 2 shown]
	s_waitcnt lgkmcnt(1)
	v_add_f32_e32 v100, v100, v103
	ds_bpermute_b32 v103, v45, v102
	v_cndmask_b32_e64 v101, -v101, v101, s[30:31]
	s_waitcnt lgkmcnt(1)
	v_add_f32_e32 v101, v101, v104
	ds_bpermute_b32 v104, v45, v128
	ds_bpermute_b32 v107, v45, v139
	;; [unrolled: 1-line block ×3, first 2 shown]
	v_cndmask_b32_e64 v102, -v102, v102, s[30:31]
	s_waitcnt lgkmcnt(3)
	v_add_f32_e32 v102, v102, v103
	v_cndmask_b32_e64 v103, -v128, v128, s[30:31]
	s_waitcnt lgkmcnt(2)
	v_add_f32_e32 v103, v103, v104
	v_cndmask_b32_e64 v104, -v139, v139, s[30:31]
	s_waitcnt lgkmcnt(1)
	v_add_f32_e32 v104, v104, v107
	ds_bpermute_b32 v107, v45, v106
	v_cndmask_b32_e64 v105, -v105, v105, s[30:31]
	s_waitcnt lgkmcnt(1)
	v_add_f32_e32 v105, v105, v108
	ds_bpermute_b32 v108, v45, v137
	ds_bpermute_b32 v112, v45, v164
	v_cndmask_b32_e64 v106, -v106, v106, s[30:31]
	ds_bpermute_b32 v128, v45, v109
	s_waitcnt lgkmcnt(3)
	v_add_f32_e32 v106, v106, v107
	v_cndmask_b32_e64 v107, -v137, v137, s[30:31]
	s_waitcnt lgkmcnt(2)
	v_add_f32_e32 v107, v107, v108
	v_cndmask_b32_e64 v108, -v164, v164, s[30:31]
	s_waitcnt lgkmcnt(1)
	v_add_f32_e32 v108, v108, v112
	ds_bpermute_b32 v112, v45, v110
	v_cndmask_b32_e64 v109, -v109, v109, s[30:31]
	s_waitcnt lgkmcnt(1)
	v_add_f32_e32 v109, v109, v128
	ds_bpermute_b32 v128, v45, v111
	;; [unrolled: 4-line block ×22, first 2 shown]
	v_add_f32_e32 v131, v134, v138
	v_cndmask_b32_e64 v13, -v13, v13, s[30:31]
	s_waitcnt lgkmcnt(1)
	v_add_f32_e32 v13, v13, v130
	ds_bpermute_b32 v130, v45, v131
	v_cndmask_b32_e64 v129, -v129, v129, s[30:31]
	s_waitcnt lgkmcnt(1)
	v_add_f32_e32 v129, v129, v128
	ds_bpermute_b32 v128, v45, v6
	v_cndmask_b32_e64 v131, -v131, v131, s[30:31]
	s_waitcnt lgkmcnt(1)
	v_add_f32_e32 v131, v131, v130
	ds_bpermute_b32 v130, v45, v10
	v_cndmask_b32_e64 v6, -v6, v6, s[30:31]
	s_waitcnt lgkmcnt(1)
	v_add_f32_e32 v6, v6, v128
	ds_bpermute_b32 v128, v45, v56
	v_sub_f32_e32 v147, v134, v138
	v_cndmask_b32_e64 v10, -v10, v10, s[30:31]
	s_waitcnt lgkmcnt(1)
	v_add_f32_e32 v10, v10, v130
	ds_bpermute_b32 v130, v45, v147
	v_cndmask_b32_e64 v56, -v56, v56, s[30:31]
	s_waitcnt lgkmcnt(1)
	v_add_f32_e32 v133, v56, v128
	ds_bpermute_b32 v56, v45, v4
	;; [unrolled: 4-line block ×4, first 2 shown]
	v_add_f32_e32 v148, v135, v140
	v_cndmask_b32_e64 v7, -v7, v7, s[30:31]
	s_waitcnt lgkmcnt(1)
	v_add_f32_e32 v7, v7, v128
	ds_bpermute_b32 v128, v45, v148
	v_cndmask_b32_e64 v11, -v11, v11, s[30:31]
	s_waitcnt lgkmcnt(1)
	v_add_f32_e32 v11, v11, v56
	ds_bpermute_b32 v56, v45, v3
	;; [unrolled: 4-line block ×3, first 2 shown]
	v_cndmask_b32_e64 v3, -v3, v3, s[30:31]
	v_sub_f32_e32 v14, v135, v140
	s_waitcnt lgkmcnt(1)
	v_add_f32_e32 v149, v3, v56
	ds_bpermute_b32 v3, v45, v8
	ds_bpermute_b32 v56, v45, v14
	v_cndmask_b32_e64 v5, -v5, v5, s[30:31]
	s_waitcnt lgkmcnt(2)
	v_add_f32_e32 v150, v5, v128
	v_cndmask_b32_e64 v5, -v8, v8, s[30:31]
	v_xor_b32_e32 v8, 2, v1
	v_cmp_lt_i32_e64 s[4:5], v8, v2
	s_waitcnt lgkmcnt(1)
	v_add_f32_e32 v3, v5, v3
	v_cndmask_b32_e64 v5, -v14, v14, s[30:31]
	v_cndmask_b32_e64 v8, v1, v8, s[4:5]
	s_waitcnt lgkmcnt(0)
	v_add_f32_e32 v5, v5, v56
	v_lshlrev_b32_e32 v56, 2, v8
	ds_bpermute_b32 v8, v56, v15
	v_and_b32_e32 v14, 2, v0
	v_cmp_eq_u32_e64 s[34:35], 0, v14
	v_cndmask_b32_e64 v14, -v15, v15, s[34:35]
	ds_bpermute_b32 v15, v56, v17
	ds_bpermute_b32 v128, v56, v16
	s_waitcnt lgkmcnt(2)
	v_add_f32_e32 v8, v14, v8
	v_cndmask_b32_e64 v14, -v16, v16, s[34:35]
	ds_bpermute_b32 v16, v56, v18
	v_cndmask_b32_e64 v17, -v17, v17, s[34:35]
	s_waitcnt lgkmcnt(2)
	v_add_f32_e32 v15, v17, v15
	ds_bpermute_b32 v17, v56, v19
	v_cndmask_b32_e64 v18, -v18, v18, s[34:35]
	s_waitcnt lgkmcnt(1)
	v_add_f32_e32 v16, v18, v16
	;; [unrolled: 4-line block ×107, first 2 shown]
	v_cndmask_b32_e64 v123, -v125, v125, s[34:35]
	ds_bpermute_b32 v125, v56, v127
	v_add_f32_e32 v14, v14, v128
	ds_bpermute_b32 v128, v56, v126
	s_waitcnt lgkmcnt(2)
	v_add_f32_e32 v123, v123, v124
	v_cndmask_b32_e64 v124, -v126, v126, s[34:35]
	ds_bpermute_b32 v126, v56, v9
	v_cndmask_b32_e64 v127, -v127, v127, s[34:35]
	s_waitcnt lgkmcnt(2)
	v_add_f32_e32 v125, v127, v125
	ds_bpermute_b32 v127, v56, v13
	v_cndmask_b32_e64 v9, -v9, v9, s[34:35]
	s_waitcnt lgkmcnt(1)
	v_add_f32_e32 v9, v9, v126
	ds_bpermute_b32 v126, v56, v129
	v_cndmask_b32_e64 v13, -v13, v13, s[34:35]
	v_add_f32_e32 v124, v124, v128
	s_waitcnt lgkmcnt(1)
	v_add_f32_e32 v13, v13, v127
	ds_bpermute_b32 v127, v56, v131
	v_cndmask_b32_e64 v128, -v129, v129, s[34:35]
	s_waitcnt lgkmcnt(1)
	v_add_f32_e32 v126, v128, v126
	ds_bpermute_b32 v128, v56, v6
	v_cndmask_b32_e64 v129, -v131, v131, s[34:35]
	;; [unrolled: 4-line block ×10, first 2 shown]
	s_waitcnt lgkmcnt(1)
	v_add_f32_e32 v133, v132, v130
	v_cndmask_b32_e64 v130, -v149, v149, s[34:35]
	ds_bpermute_b32 v132, v56, v150
	s_waitcnt lgkmcnt(1)
	v_add_f32_e32 v147, v130, v128
	ds_bpermute_b32 v128, v56, v3
	v_cndmask_b32_e64 v3, -v3, v3, s[34:35]
	v_cndmask_b32_e64 v130, -v150, v150, s[34:35]
	s_waitcnt lgkmcnt(1)
	v_add_f32_e32 v148, v130, v132
	v_and_b32_e32 v130, 4, v0
	s_waitcnt lgkmcnt(0)
	v_add_f32_e32 v3, v3, v128
	v_xor_b32_e32 v128, 4, v1
	v_cmp_lt_i32_e64 s[4:5], v128, v2
	v_cndmask_b32_e64 v128, v1, v128, s[4:5]
	v_lshlrev_b32_e32 v149, 2, v128
	ds_bpermute_b32 v128, v149, v8
	v_cmp_eq_u32_e64 s[4:5], 0, v130
	v_cndmask_b32_e64 v8, -v8, v8, s[4:5]
	ds_bpermute_b32 v130, v149, v16
	v_cndmask_b32_e64 v16, -v16, v16, s[4:5]
	s_waitcnt lgkmcnt(1)
	v_add_f32_e32 v8, v8, v128
	ds_bpermute_b32 v128, v149, v15
	v_cndmask_b32_e64 v15, -v15, v15, s[4:5]
	s_waitcnt lgkmcnt(1)
	v_add_f32_e32 v16, v16, v130
	;; [unrolled: 4-line block ×118, first 2 shown]
	ds_bpermute_b32 v130, v149, v7
	ds_bpermute_b32 v132, v149, v14
	s_waitcnt lgkmcnt(2)
	v_add_f32_e32 v129, v129, v128
	ds_bpermute_b32 v128, v149, v4
	v_cndmask_b32_e64 v4, -v4, v4, s[4:5]
	v_cndmask_b32_e64 v7, -v7, v7, s[4:5]
	s_waitcnt lgkmcnt(2)
	v_add_f32_e32 v7, v7, v130
	ds_bpermute_b32 v130, v149, v133
	s_waitcnt lgkmcnt(1)
	v_add_f32_e32 v4, v4, v128
	ds_bpermute_b32 v128, v149, v11
	v_cndmask_b32_e64 v11, -v11, v11, s[4:5]
	v_cndmask_b32_e64 v14, -v14, v14, s[4:5]
	v_add_f32_e32 v14, v14, v132
	v_cndmask_b32_e64 v132, -v133, v133, s[4:5]
	s_waitcnt lgkmcnt(0)
	v_add_f32_e32 v11, v11, v128
	ds_bpermute_b32 v128, v149, v147
	v_add_f32_e32 v133, v132, v130
	v_cndmask_b32_e64 v130, -v147, v147, s[4:5]
	ds_bpermute_b32 v134, v56, v5
	v_cndmask_b32_e64 v5, -v5, v5, s[34:35]
	s_waitcnt lgkmcnt(1)
	v_add_f32_e32 v147, v130, v128
	ds_bpermute_b32 v128, v149, v3
	v_cndmask_b32_e64 v3, -v3, v3, s[4:5]
	s_waitcnt lgkmcnt(1)
	v_add_f32_e32 v5, v5, v134
	;; [unrolled: 4-line block ×3, first 2 shown]
	v_xor_b32_e32 v128, 8, v1
	ds_bpermute_b32 v134, v149, v5
	v_cndmask_b32_e64 v5, -v5, v5, s[4:5]
	v_cmp_lt_i32_e64 s[4:5], v128, v2
	v_cndmask_b32_e64 v128, v1, v128, s[4:5]
	v_lshlrev_b32_e32 v149, 2, v128
	ds_bpermute_b32 v128, v149, v8
	s_waitcnt lgkmcnt(2)
	v_add_f32_e32 v148, v130, v132
	v_and_b32_e32 v130, 8, v0
	v_cmp_eq_u32_e64 s[4:5], 0, v130
	v_cndmask_b32_e64 v8, -v8, v8, s[4:5]
	s_waitcnt lgkmcnt(0)
	v_add_f32_e32 v8, v8, v128
	ds_bpermute_b32 v128, v149, v15
	ds_bpermute_b32 v130, v149, v16
	v_cndmask_b32_e64 v15, -v15, v15, s[4:5]
	v_cndmask_b32_e64 v16, -v16, v16, s[4:5]
	ds_bpermute_b32 v132, v149, v14
	s_waitcnt lgkmcnt(2)
	v_add_f32_e32 v15, v15, v128
	ds_bpermute_b32 v128, v149, v17
	s_waitcnt lgkmcnt(2)
	v_add_f32_e32 v16, v16, v130
	ds_bpermute_b32 v130, v149, v18
	v_cndmask_b32_e64 v17, -v17, v17, s[4:5]
	v_cndmask_b32_e64 v18, -v18, v18, s[4:5]
	s_waitcnt lgkmcnt(1)
	v_add_f32_e32 v17, v17, v128
	ds_bpermute_b32 v128, v149, v19
	s_waitcnt lgkmcnt(1)
	v_add_f32_e32 v18, v18, v130
	ds_bpermute_b32 v130, v149, v20
	v_cndmask_b32_e64 v19, -v19, v19, s[4:5]
	v_cndmask_b32_e64 v20, -v20, v20, s[4:5]
	;; [unrolled: 8-line block ×60, first 2 shown]
	s_waitcnt lgkmcnt(1)
	v_add_f32_e32 v11, v11, v128
	ds_bpermute_b32 v128, v149, v147
	v_add_f32_e32 v14, v14, v132
	v_cndmask_b32_e64 v132, -v133, v133, s[4:5]
	s_waitcnt lgkmcnt(1)
	v_add_f32_e32 v133, v132, v130
	v_cndmask_b32_e64 v130, -v147, v147, s[4:5]
	s_waitcnt lgkmcnt(0)
	v_add_f32_e32 v155, v130, v128
	ds_bpermute_b32 v128, v149, v3
	v_cndmask_b32_e64 v3, -v3, v3, s[4:5]
	v_add_f32_e32 v5, v5, v134
	ds_bpermute_b32 v132, v149, v148
	v_cndmask_b32_e64 v130, -v148, v148, s[4:5]
	s_waitcnt lgkmcnt(1)
	v_add_f32_e32 v3, v3, v128
	v_xor_b32_e32 v128, 16, v1
	ds_bpermute_b32 v134, v149, v5
	v_cndmask_b32_e64 v5, -v5, v5, s[4:5]
	v_cmp_lt_i32_e64 s[4:5], v128, v2
	v_cndmask_b32_e64 v128, v1, v128, s[4:5]
	v_lshlrev_b32_e32 v158, 2, v128
	ds_bpermute_b32 v128, v158, v8
	s_waitcnt lgkmcnt(2)
	v_add_f32_e32 v156, v130, v132
	v_and_b32_e32 v130, 16, v0
	v_cmp_eq_u32_e64 s[4:5], 0, v130
	v_cndmask_b32_e64 v8, -v8, v8, s[4:5]
	s_waitcnt lgkmcnt(0)
	v_add_f32_e32 v8, v8, v128
	ds_bpermute_b32 v128, v158, v15
	v_cndmask_b32_e64 v15, -v15, v15, s[4:5]
	ds_bpermute_b32 v130, v158, v16
	v_cndmask_b32_e64 v16, -v16, v16, s[4:5]
	v_add_f32_e32 v5, v5, v134
	s_waitcnt lgkmcnt(1)
	v_add_f32_e32 v15, v15, v128
	ds_bpermute_b32 v128, v158, v17
	v_cndmask_b32_e64 v17, -v17, v17, s[4:5]
	s_waitcnt lgkmcnt(1)
	v_add_f32_e32 v16, v16, v130
	ds_bpermute_b32 v130, v158, v18
	v_cndmask_b32_e64 v18, -v18, v18, s[4:5]
	;; [unrolled: 4-line block ×103, first 2 shown]
	s_waitcnt lgkmcnt(1)
	v_add_f32_e32 v120, v120, v130
	ds_bpermute_b32 v130, v158, v122
	ds_bpermute_b32 v132, v158, v14
	s_waitcnt lgkmcnt(2)
	v_add_f32_e32 v121, v121, v128
	ds_bpermute_b32 v128, v158, v12
	v_cndmask_b32_e64 v12, -v12, v12, s[4:5]
	v_cndmask_b32_e64 v122, -v122, v122, s[4:5]
	;; [unrolled: 1-line block ×3, first 2 shown]
	s_waitcnt lgkmcnt(2)
	v_add_f32_e32 v122, v122, v130
	s_waitcnt lgkmcnt(0)
	v_add_f32_e32 v147, v12, v128
	ds_bpermute_b32 v12, v158, v124
	ds_bpermute_b32 v128, v158, v125
	v_cndmask_b32_e64 v124, -v124, v124, s[4:5]
	v_cndmask_b32_e64 v125, -v125, v125, s[4:5]
	ds_bpermute_b32 v130, v158, v123
	s_waitcnt lgkmcnt(2)
	v_add_f32_e32 v124, v124, v12
	ds_bpermute_b32 v12, v158, v9
	s_waitcnt lgkmcnt(2)
	v_add_f32_e32 v125, v125, v128
	ds_bpermute_b32 v128, v158, v13
	v_cndmask_b32_e64 v9, -v9, v9, s[4:5]
	v_cndmask_b32_e64 v123, -v123, v123, s[4:5]
	s_waitcnt lgkmcnt(1)
	v_add_f32_e32 v148, v9, v12
	ds_bpermute_b32 v9, v158, v126
	v_cndmask_b32_e64 v12, -v13, v13, s[4:5]
	s_waitcnt lgkmcnt(1)
	v_add_f32_e32 v149, v12, v128
	ds_bpermute_b32 v12, v158, v127
	;; [unrolled: 4-line block ×11, first 2 shown]
	v_cndmask_b32_e64 v7, -v133, v133, s[4:5]
	s_waitcnt lgkmcnt(1)
	v_add_f32_e32 v133, v7, v6
	v_cndmask_b32_e64 v6, -v155, v155, s[4:5]
	ds_bpermute_b32 v9, v158, v5
	s_waitcnt lgkmcnt(1)
	v_add_f32_e32 v157, v6, v4
	ds_bpermute_b32 v4, v158, v3
	v_cndmask_b32_e64 v3, -v3, v3, s[4:5]
	ds_bpermute_b32 v7, v158, v156
	v_cndmask_b32_e64 v6, -v156, v156, s[4:5]
	v_add_f32_e32 v14, v14, v132
	s_waitcnt lgkmcnt(1)
	v_add_f32_e32 v155, v3, v4
	v_cndmask_b32_e64 v3, -v5, v5, s[4:5]
	v_add_f32_e32 v156, v3, v9
	v_xor_b32_e32 v3, 32, v1
	v_cmp_lt_i32_e64 s[4:5], v3, v2
	v_cndmask_b32_e64 v1, v1, v3, s[4:5]
	v_lshlrev_b32_e32 v159, 2, v1
	ds_bpermute_b32 v1, v159, v8
	ds_bpermute_b32 v3, v159, v14
	v_and_b32_e32 v2, 32, v0
	ds_bpermute_b32 v4, v159, v15
	v_cmp_eq_u32_e64 s[4:5], 0, v2
	ds_bpermute_b32 v5, v159, v16
	s_waitcnt lgkmcnt(4)
	v_add_f32_e32 v158, v6, v7
	v_cndmask_b32_e64 v2, -v8, v8, s[4:5]
	ds_bpermute_b32 v6, v159, v17
	s_waitcnt lgkmcnt(4)
	v_add_f32_e32 v1, v2, v1
	v_cndmask_b32_e64 v2, -v14, v14, s[4:5]
	;; [unrolled: 4-line block ×50, first 2 shown]
	s_waitcnt lgkmcnt(3)
	v_add_f32_e32 v51, v51, v52
	v_cndmask_b32_e64 v52, -v65, v65, s[4:5]
	s_waitcnt lgkmcnt(2)
	v_add_f32_e32 v52, v52, v53
	v_cndmask_b32_e64 v53, -v66, v66, s[4:5]
	s_waitcnt lgkmcnt(1)
	v_add_f32_e32 v53, v53, v54
	ds_bpermute_b32 v54, v159, v68
	v_cndmask_b32_e64 v57, -v67, v67, s[4:5]
	s_waitcnt lgkmcnt(1)
	v_add_f32_e32 v57, v57, v55
	ds_bpermute_b32 v55, v159, v69
	;; [unrolled: 4-line block ×56, first 2 shown]
	v_add_f32_e32 v123, v123, v130
	v_cndmask_b32_e64 v93, -v122, v122, s[4:5]
	s_waitcnt lgkmcnt(1)
	v_add_f32_e32 v120, v93, v54
	ds_bpermute_b32 v54, v159, v123
	v_cndmask_b32_e64 v93, -v147, v147, s[4:5]
	s_waitcnt lgkmcnt(1)
	v_add_f32_e32 v121, v93, v55
	ds_bpermute_b32 v55, v159, v124
	;; [unrolled: 4-line block ×16, first 2 shown]
	v_cndmask_b32_e64 v93, -v133, v133, s[4:5]
	s_waitcnt lgkmcnt(1)
	v_add_f32_e32 v132, v93, v54
	v_cndmask_b32_e64 v54, -v157, v157, s[4:5]
	ds_bpermute_b32 v93, v159, v158
	s_waitcnt lgkmcnt(1)
	v_add_f32_e32 v138, v54, v55
	ds_bpermute_b32 v54, v159, v155
	ds_bpermute_b32 v94, v159, v156
	v_cndmask_b32_e64 v55, -v158, v158, s[4:5]
	s_waitcnt lgkmcnt(2)
	v_add_f32_e32 v139, v55, v93
	v_cndmask_b32_e64 v55, -v155, v155, s[4:5]
	s_waitcnt lgkmcnt(1)
	v_add_f32_e32 v140, v55, v54
	;; [unrolled: 3-line block ×3, first 2 shown]
	v_lshrrev_b32_e32 v54, 6, v0
	v_and_b32_e32 v55, 3, v0
	v_lshrrev_b32_e32 v93, 2, v0
	v_xor_b32_e32 v0, v54, v0
	v_lshl_add_u32 v100, v0, 4, 0
	v_lshl_or_b32 v0, v55, 6, v93
	v_xor_b32_e32 v0, v0, v55
	v_lshl_add_u32 v96, v0, 4, 0
	s_waitcnt vmcnt(0)
	s_barrier
	ds_write_b128 v100, v[1:4]
	ds_write_b128 v100, v[5:8] offset:4096
	ds_write_b128 v100, v[9:12] offset:8192
	ds_write_b128 v100, v[13:16] offset:12288
	ds_write_b128 v100, v[17:20] offset:16384
	ds_write_b128 v100, v[21:24] offset:20480
	ds_write_b128 v100, v[25:28] offset:24576
	ds_write_b128 v100, v[29:32] offset:28672
	s_waitcnt lgkmcnt(0)
	s_barrier
	ds_read_b128 v[142:145], v96
	ds_read_b128 v[147:150], v96 offset:4096
	ds_read_b128 v[151:154], v96 offset:8192
	;; [unrolled: 1-line block ×7, first 2 shown]
	s_waitcnt lgkmcnt(0)
	s_barrier
	ds_write_b128 v100, v[33:36]
	ds_write_b128 v100, v[37:40] offset:4096
	ds_write_b128 v100, v[41:44] offset:8192
	;; [unrolled: 1-line block ×7, first 2 shown]
	ds_bpermute_b32 v40, v45, v142
	ds_bpermute_b32 v41, v45, v143
	v_cndmask_b32_e64 v42, -v142, v142, s[30:31]
	v_cndmask_b32_e64 v43, -v143, v143, s[30:31]
	;; [unrolled: 1-line block ×3, first 2 shown]
	s_waitcnt lgkmcnt(1)
	v_add_f32_e32 v40, v42, v40
	ds_bpermute_b32 v42, v45, v144
	s_waitcnt lgkmcnt(1)
	v_add_f32_e32 v41, v43, v41
	ds_bpermute_b32 v43, v45, v145
	v_cndmask_b32_e64 v46, -v145, v145, s[30:31]
	v_cndmask_b32_e64 v47, -v147, v147, s[30:31]
	s_waitcnt lgkmcnt(1)
	v_add_f32_e32 v42, v44, v42
	ds_bpermute_b32 v44, v45, v147
	s_waitcnt lgkmcnt(1)
	v_add_f32_e32 v43, v46, v43
	ds_bpermute_b32 v46, v45, v148
	v_cndmask_b32_e64 v48, -v148, v148, s[30:31]
	v_cndmask_b32_e64 v49, -v149, v149, s[30:31]
	;; [unrolled: 8-line block ×11, first 2 shown]
	s_waitcnt lgkmcnt(1)
	v_add_f32_e32 v64, v66, v64
	ds_bpermute_b32 v66, v45, v167
	s_waitcnt lgkmcnt(1)
	v_add_f32_e32 v65, v67, v65
	ds_bpermute_b32 v67, v45, v168
	s_waitcnt lgkmcnt(0)
	s_barrier
	v_add_f32_e32 v66, v68, v66
	ds_bpermute_b32 v68, v45, v169
	s_waitcnt lgkmcnt(0)
	ds_read_b128 v[175:178], v96
	ds_read_b128 v[179:182], v96 offset:4096
	ds_read_b128 v[183:186], v96 offset:8192
	;; [unrolled: 1-line block ×7, first 2 shown]
	s_waitcnt lgkmcnt(0)
	s_barrier
	ds_write_b128 v100, v[69:72]
	ds_write_b128 v100, v[73:76] offset:4096
	ds_write_b128 v100, v[77:80] offset:8192
	;; [unrolled: 1-line block ×7, first 2 shown]
	v_cndmask_b32_e64 v69, -v168, v168, s[30:31]
	v_add_f32_e32 v67, v69, v67
	ds_bpermute_b32 v69, v45, v170
	v_cndmask_b32_e64 v70, -v169, v169, s[30:31]
	v_add_f32_e32 v68, v70, v68
	ds_bpermute_b32 v70, v45, v171
	v_cndmask_b32_e64 v71, -v170, v170, s[30:31]
	s_waitcnt lgkmcnt(1)
	v_add_f32_e32 v69, v71, v69
	ds_bpermute_b32 v71, v45, v172
	v_cndmask_b32_e64 v72, -v171, v171, s[30:31]
	s_waitcnt lgkmcnt(1)
	;; [unrolled: 4-line block ×36, first 2 shown]
	s_barrier
	ds_read_b128 v[207:210], v96
	ds_read_b128 v[211:214], v96 offset:4096
	ds_read_b128 v[215:218], v96 offset:8192
	;; [unrolled: 1-line block ×7, first 2 shown]
	v_add_f32_e32 v106, v108, v106
	s_waitcnt lgkmcnt(7)
	ds_bpermute_b32 v108, v45, v207
	s_waitcnt lgkmcnt(0)
	s_barrier
	ds_write_b128 v100, v[109:112]
	ds_write_b128 v100, v[113:116] offset:4096
	ds_write_b128 v100, v[117:120] offset:8192
	ds_write_b128 v100, v[121:124] offset:12288
	ds_write_b128 v100, v[134:137] offset:16384
	ds_write_b128 v100, v[125:128] offset:20480
	ds_write_b128 v100, v[129:132] offset:24576
	ds_write_b128 v100, v[138:141] offset:28672
	v_cndmask_b32_e64 v109, -v206, v206, s[30:31]
	v_add_f32_e32 v107, v109, v107
	ds_bpermute_b32 v109, v45, v208
	v_cndmask_b32_e64 v110, -v207, v207, s[30:31]
	v_add_f32_e32 v108, v110, v108
	ds_bpermute_b32 v110, v45, v209
	v_cndmask_b32_e64 v111, -v208, v208, s[30:31]
	s_waitcnt lgkmcnt(1)
	v_add_f32_e32 v109, v111, v109
	ds_bpermute_b32 v111, v45, v210
	v_cndmask_b32_e64 v112, -v209, v209, s[30:31]
	s_waitcnt lgkmcnt(1)
	;; [unrolled: 4-line block ×30, first 2 shown]
	s_barrier
	ds_read_b128 v[36:39], v96
	ds_read_b128 v[28:31], v96 offset:4096
	ds_read_b128 v[20:23], v96 offset:8192
	;; [unrolled: 1-line block ×5, first 2 shown]
	v_add_f32_e32 v154, v26, v24
	s_waitcnt lgkmcnt(5)
	ds_bpermute_b32 v24, v45, v36
	v_cndmask_b32_e64 v26, -v27, v27, s[30:31]
	v_add_f32_e32 v155, v26, v25
	ds_bpermute_b32 v25, v45, v37
	v_cndmask_b32_e64 v26, -v36, v36, s[30:31]
	s_waitcnt lgkmcnt(1)
	v_add_f32_e32 v156, v26, v24
	ds_bpermute_b32 v24, v45, v38
	v_cndmask_b32_e64 v26, -v37, v37, s[30:31]
	s_waitcnt lgkmcnt(1)
	;; [unrolled: 4-line block ×21, first 2 shown]
	v_add_f32_e32 v176, v8, v12
	ds_bpermute_b32 v8, v45, v10
	ds_read_b128 v[4:7], v96 offset:24576
	ds_read_b128 v[0:3], v96 offset:28672
	v_cndmask_b32_e64 v9, -v9, v9, s[30:31]
	s_waitcnt lgkmcnt(3)
	v_add_f32_e32 v177, v9, v13
	ds_bpermute_b32 v9, v45, v11
	v_cndmask_b32_e64 v10, -v10, v10, s[30:31]
	s_waitcnt lgkmcnt(3)
	v_add_f32_e32 v178, v10, v8
	s_waitcnt lgkmcnt(2)
	ds_bpermute_b32 v8, v45, v4
	v_cndmask_b32_e64 v10, -v11, v11, s[30:31]
	s_waitcnt lgkmcnt(1)
	v_add_f32_e32 v179, v10, v9
	ds_bpermute_b32 v9, v45, v5
	v_cndmask_b32_e64 v4, -v4, v4, s[30:31]
	s_waitcnt lgkmcnt(1)
	v_add_f32_e32 v180, v4, v8
	;; [unrolled: 4-line block ×133, first 2 shown]
	v_cndmask_b32_e64 v94, -v186, v186, s[34:35]
	ds_bpermute_b32 v95, v56, v184
	s_waitcnt lgkmcnt(1)
	v_add_f32_e32 v138, v94, v93
	ds_bpermute_b32 v93, v56, v185
	ds_bpermute_b32 v56, v56, v187
	v_cndmask_b32_e64 v94, -v184, v184, s[34:35]
	s_waitcnt lgkmcnt(2)
	v_add_f32_e32 v139, v94, v95
	v_cndmask_b32_e64 v94, -v185, v185, s[34:35]
	s_waitcnt lgkmcnt(1)
	v_add_f32_e32 v140, v94, v93
	;; [unrolled: 3-line block ×3, first 2 shown]
	s_barrier
	ds_write_b128 v96, v[0:3]
	ds_write_b128 v96, v[4:7] offset:4096
	ds_write_b128 v96, v[8:11] offset:8192
	;; [unrolled: 1-line block ×7, first 2 shown]
	s_waitcnt lgkmcnt(0)
	s_barrier
	ds_read_b128 v[0:3], v100
	ds_read_b128 v[8:11], v100 offset:8192
	ds_read_b128 v[4:7], v100 offset:16384
	;; [unrolled: 1-line block ×7, first 2 shown]
	s_waitcnt lgkmcnt(0)
	s_barrier
	ds_write_b128 v96, v[16:19]
	ds_write_b128 v96, v[24:27] offset:4096
	ds_write_b128 v96, v[32:35] offset:8192
	;; [unrolled: 1-line block ×7, first 2 shown]
	s_waitcnt lgkmcnt(0)
	s_barrier
	ds_read_b128 v[56:59], v100
	ds_read_b128 v[40:43], v100 offset:4096
	ds_read_b128 v[60:63], v100 offset:8192
	;; [unrolled: 1-line block ×7, first 2 shown]
	v_add_f32_e32 v168, v0, v8
	v_add_f32_e32 v170, v4, v12
	s_waitcnt lgkmcnt(5)
	v_add_f32_e32 v213, v56, v60
	s_waitcnt lgkmcnt(1)
	v_add_f32_e32 v221, v32, v48
	v_add_f32_e32 v169, v1, v9
	;; [unrolled: 1-line block ×10, first 2 shown]
	s_waitcnt lgkmcnt(0)
	s_barrier
	ds_write_b128 v96, v[65:68]
	ds_write_b128 v96, v[69:72] offset:4096
	ds_write_b128 v96, v[73:76] offset:8192
	;; [unrolled: 1-line block ×7, first 2 shown]
	s_waitcnt lgkmcnt(0)
	s_barrier
	ds_read_b128 v[88:91], v100
	ds_read_b128 v[76:79], v100 offset:4096
	ds_read_b128 v[92:95], v100 offset:8192
	ds_read_b128 v[84:87], v100 offset:12288
	ds_read_b128 v[72:75], v100 offset:16384
	ds_read_b128 v[64:67], v100 offset:20480
	ds_read_b128 v[80:83], v100 offset:24576
	ds_read_b128 v[68:71], v100 offset:28672
	s_waitcnt lgkmcnt(0)
	s_barrier
	ds_write_b128 v96, v[105:108]
	ds_write_b128 v96, v[109:112] offset:4096
	ds_write_b128 v96, v[113:116] offset:8192
	;; [unrolled: 1-line block ×7, first 2 shown]
	v_add_f32_e32 v215, v58, v62
	v_add_f32_e32 v223, v34, v50
	v_add_f32_e32 v185, v214, v222
	v_add_f32_e32 v128, v129, v184
	v_add_f32_e32 v173, v3, v11
	v_add_f32_e32 v175, v7, v15
	v_add_f32_e32 v133, v172, v174
	s_waitcnt lgkmcnt(0)
	s_barrier
	ds_read_b128 v[120:123], v100
	ds_read_b128 v[108:111], v100 offset:4096
	ds_read_b128 v[124:127], v100 offset:8192
	;; [unrolled: 1-line block ×7, first 2 shown]
	v_add_f32_e32 v216, v59, v63
	v_add_f32_e32 v224, v35, v51
	v_add_f32_e32 v186, v215, v223
	buffer_store_dword v128, off, s[48:51], 0 offset:72 ; 4-byte Folded Spill
	v_add_f32_e32 v128, v131, v185
	v_add_f32_e32 v147, v173, v175
	v_add_f32_e32 v176, v20, v28
	v_add_f32_e32 v178, v36, v44
	v_add_f32_e32 v217, v40, v52
	v_add_f32_e32 v225, v16, v24
	v_add_f32_e32 v187, v216, v224
	buffer_store_dword v128, off, s[48:51], 0 offset:76 ; 4-byte Folded Spill
	v_add_f32_e32 v128, v133, v186
	v_add_f32_e32 v177, v21, v29
	v_add_f32_e32 v179, v37, v45
	v_add_f32_e32 v148, v176, v178
	;; [unrolled: 8-line block ×5, first 2 shown]
	s_waitcnt lgkmcnt(5)
	v_add_f32_e32 v245, v120, v124
	s_waitcnt lgkmcnt(1)
	v_add_f32_e32 v253, v104, v112
	v_add_f32_e32 v191, v220, v228
	buffer_store_dword v128, off, s[48:51], 0 offset:92 ; 4-byte Folded Spill
	v_add_f32_e32 v128, v150, v190
	v_add_f32_e32 v230, v89, v93
	v_add_f32_e32 v238, v73, v81
	v_add_f32_e32 v246, v121, v125
	v_add_f32_e32 v254, v105, v113
	v_add_f32_e32 v192, v229, v237
	v_add_f32_e32 v200, v245, v253
	buffer_store_dword v128, off, s[48:51], 0 offset:96 ; 4-byte Folded Spill
	v_add_f32_e32 v128, v151, v191
	v_add_f32_e32 v231, v90, v94
	v_add_f32_e32 v239, v74, v82
	v_add_f32_e32 v247, v122, v126
	v_add_f32_e32 v255, v106, v114
	;; [unrolled: 8-line block ×3, first 2 shown]
	v_add_f32_e32 v194, v231, v239
	v_add_f32_e32 v202, v247, v255
	buffer_store_dword v128, off, s[48:51], 0 offset:104 ; 4-byte Folded Spill
	v_add_f32_e32 v128, v193, v201
	s_mul_i32 s4, s46, s7
	s_mul_hi_u32 s5, s46, s6
	v_add_f32_e32 v233, v76, v84
	v_add_f32_e32 v241, v64, v68
	;; [unrolled: 1-line block ×3, first 2 shown]
	s_waitcnt lgkmcnt(0)
	v_add_f32_e32 v135, v96, v100
	v_add_f32_e32 v195, v232, v240
	;; [unrolled: 1-line block ×3, first 2 shown]
	buffer_store_dword v128, off, s[48:51], 0 offset:108 ; 4-byte Folded Spill
	v_add_f32_e32 v128, v194, v202
	s_add_i32 s4, s5, s4
	s_mul_i32 s5, s47, s6
	v_add_f32_e32 v234, v77, v85
	v_add_f32_e32 v242, v65, v69
	;; [unrolled: 1-line block ×6, first 2 shown]
	buffer_store_dword v128, off, s[48:51], 0 offset:112 ; 4-byte Folded Spill
	v_add_f32_e32 v128, v195, v203
	s_add_i32 s5, s4, s5
	s_mul_i32 s4, s46, s6
	v_add_f32_e32 v235, v78, v86
	v_add_f32_e32 v243, v66, v70
	;; [unrolled: 1-line block ×6, first 2 shown]
	buffer_store_dword v128, off, s[48:51], 0 offset:116 ; 4-byte Folded Spill
	v_add_f32_e32 v128, v196, v204
	s_lshl_b64 s[4:5], s[4:5], 1
	v_add_f32_e32 v236, v79, v87
	v_add_f32_e32 v244, v67, v71
	;; [unrolled: 1-line block ×6, first 2 shown]
	buffer_store_dword v128, off, s[48:51], 0 offset:120 ; 4-byte Folded Spill
	v_add_f32_e32 v128, v197, v205
	s_add_u32 s4, s42, s4
	v_add_f32_e32 v199, v236, v244
	v_add_f32_e32 v207, v252, v138
	buffer_store_dword v128, off, s[48:51], 0 offset:124 ; 4-byte Folded Spill
	v_add_f32_e32 v128, v198, v206
	s_addc_u32 s5, s43, s5
	buffer_store_dword v128, off, s[48:51], 0 offset:128 ; 4-byte Folded Spill
	v_add_f32_e32 v128, v199, v207
	buffer_store_dword v128, off, s[48:51], 0 offset:132 ; 4-byte Folded Spill
	s_and_saveexec_b64 s[6:7], s[28:29]
	s_cbranch_execz .LBB25_34
; %bb.33:
	v_add_f32_e32 v128, v151, v191
	v_add_f32_e32 v130, v199, v207
	;; [unrolled: 1-line block ×24, first 2 shown]
	v_fma_mixlo_f16 v142, s33, v130, 0
	v_fma_mixlo_f16 v141, s33, v139, 0
	;; [unrolled: 1-line block ×4, first 2 shown]
	v_fma_mixhi_f16 v142, s33, v128, 0
	v_fma_mixhi_f16 v141, s33, v132, 0
	;; [unrolled: 1-line block ×4, first 2 shown]
	global_store_dwordx4 v146, v[139:142], s[4:5]
.LBB25_34:
	s_or_b64 exec, exec, s[6:7]
	v_sub_f32_e32 v140, v0, v8
	v_sub_f32_e32 v142, v4, v12
	;; [unrolled: 1-line block ×7, first 2 shown]
	v_add_f32_e32 v146, v140, v142
	v_sub_f32_e32 v38, v38, v46
	v_sub_f32_e32 v46, v57, v61
	;; [unrolled: 1-line block ×4, first 2 shown]
	v_add_f32_e32 v66, v47, v32
	v_add_f32_e32 v208, v139, v141
	v_sub_f32_e32 v144, v2, v10
	v_sub_f32_e32 v132, v6, v14
	;; [unrolled: 1-line block ×5, first 2 shown]
	v_add_f32_e32 v67, v46, v33
	v_add_f32_e32 v6, v146, v66
	v_sub_f32_e32 v143, v3, v11
	v_sub_f32_e32 v145, v7, v15
	v_add_f32_e32 v209, v144, v132
	v_sub_f32_e32 v56, v59, v63
	v_sub_f32_e32 v35, v35, v51
	;; [unrolled: 1-line block ×3, first 2 shown]
	v_add_f32_e32 v68, v57, v34
	buffer_store_dword v6, off, s[48:51], 0 offset:136 ; 4-byte Folded Spill
	v_add_f32_e32 v6, v208, v67
	v_add_f32_e32 v210, v143, v145
	v_sub_f32_e32 v130, v20, v28
	v_sub_f32_e32 v36, v36, v44
	;; [unrolled: 1-line block ×5, first 2 shown]
	v_add_f32_e32 v69, v56, v35
	buffer_store_dword v6, off, s[48:51], 0 offset:140 ; 4-byte Folded Spill
	v_add_f32_e32 v6, v209, v68
	v_sub_f32_e32 v128, v21, v29
	v_sub_f32_e32 v37, v37, v45
	v_add_f32_e32 v44, v130, v36
	v_sub_f32_e32 v41, v41, v53
	v_sub_f32_e32 v48, v17, v25
	v_add_f32_e32 v70, v40, v49
	buffer_store_dword v6, off, s[48:51], 0 offset:144 ; 4-byte Folded Spill
	v_add_f32_e32 v6, v210, v69
	v_add_f32_e32 v45, v128, v37
	v_sub_f32_e32 v152, v23, v31
	v_sub_f32_e32 v153, v22, v30
	;; [unrolled: 1-line block ×34, first 2 shown]
	v_add_f32_e32 v71, v41, v48
	buffer_store_dword v6, off, s[48:51], 0 offset:148 ; 4-byte Folded Spill
	v_add_f32_e32 v6, v44, v70
	v_add_f32_e32 v211, v153, v38
	;; [unrolled: 1-line block ×21, first 2 shown]
	buffer_store_dword v6, off, s[48:51], 0 offset:152 ; 4-byte Folded Spill
	v_add_f32_e32 v6, v45, v71
	buffer_store_dword v6, off, s[48:51], 0 offset:156 ; 4-byte Folded Spill
	v_add_f32_e32 v6, v211, v72
	v_add_f32_e32 v7, v212, v73
	;; [unrolled: 1-line block ×10, first 2 shown]
	s_and_saveexec_b64 s[6:7], s[22:23]
	s_cbranch_execz .LBB25_36
; %bb.35:
	v_add_f32_e32 v16, v146, v66
	v_add_f32_e32 v16, v16, v8
	;; [unrolled: 1-line block ×4, first 2 shown]
	v_fma_mixlo_f16 v16, s33, v16, 0
	v_fma_mixhi_f16 v16, s33, v20, 0
	buffer_load_dword v20, off, s[48:51], 0 offset:60 ; 4-byte Folded Reload
	v_add_f32_e32 v18, v210, v69
	v_add_f32_e32 v17, v209, v68
	;; [unrolled: 1-line block ×10, first 2 shown]
	v_fma_mixlo_f16 v17, s33, v17, 0
	v_fma_mixlo_f16 v18, s33, v18, 0
	;; [unrolled: 1-line block ×3, first 2 shown]
	v_fma_mixhi_f16 v19, s33, v23, 0
	v_fma_mixhi_f16 v18, s33, v22, 0
	;; [unrolled: 1-line block ×3, first 2 shown]
	s_waitcnt vmcnt(0)
	global_store_dwordx4 v20, v[16:19], s[4:5]
.LBB25_36:
	s_or_b64 exec, exec, s[6:7]
	v_sub_f32_e32 v90, v168, v170
	v_sub_f32_e32 v91, v169, v171
	;; [unrolled: 1-line block ×32, first 2 shown]
	v_add_f32_e32 v16, v90, v98
	v_add_f32_e32 v17, v91, v99
	;; [unrolled: 1-line block ×16, first 2 shown]
	s_and_saveexec_b64 s[6:7], s[14:15]
	s_cbranch_execz .LBB25_38
; %bb.37:
	v_add_f32_e32 v122, v16, v24
	v_add_f32_e32 v126, v17, v25
	v_fma_mixlo_f16 v122, s33, v122, 0
	v_fma_mixhi_f16 v122, s33, v126, 0
	buffer_load_dword v126, off, s[48:51], 0 offset:44 ; 4-byte Folded Reload
	v_add_f32_e32 v123, v18, v26
	v_add_f32_e32 v124, v20, v28
	;; [unrolled: 1-line block ×6, first 2 shown]
	v_fma_mixlo_f16 v123, s33, v123, 0
	v_fma_mixlo_f16 v124, s33, v124, 0
	;; [unrolled: 1-line block ×3, first 2 shown]
	v_fma_mixhi_f16 v125, s33, v135, 0
	v_fma_mixhi_f16 v124, s33, v134, 0
	;; [unrolled: 1-line block ×3, first 2 shown]
	s_waitcnt vmcnt(0)
	global_store_dwordx4 v126, v[122:125], s[4:5]
.LBB25_38:
	s_or_b64 exec, exec, s[6:7]
	v_sub_f32_e32 v122, v139, v141
	v_sub_f32_e32 v123, v140, v142
	;; [unrolled: 1-line block ×32, first 2 shown]
	v_add_f32_e32 v32, v123, v136
	v_add_f32_e32 v33, v122, v132
	;; [unrolled: 1-line block ×16, first 2 shown]
	s_and_saveexec_b64 s[6:7], s[8:9]
	s_cbranch_execz .LBB25_40
; %bb.39:
	v_add_f32_e32 v0, v32, v40
	v_add_f32_e32 v4, v33, v41
	v_fma_mixlo_f16 v0, s33, v0, 0
	v_fma_mixhi_f16 v0, s33, v4, 0
	buffer_load_dword v4, off, s[48:51], 0 offset:28 ; 4-byte Folded Reload
	v_add_f32_e32 v1, v34, v42
	v_add_f32_e32 v2, v36, v46
	v_add_f32_e32 v3, v38, v48
	v_add_f32_e32 v5, v35, v43
	v_add_f32_e32 v50, v37, v47
	v_add_f32_e32 v51, v39, v49
	v_fma_mixlo_f16 v1, s33, v1, 0
	v_fma_mixlo_f16 v2, s33, v2, 0
	v_fma_mixlo_f16 v3, s33, v3, 0
	v_fma_mixhi_f16 v3, s33, v51, 0
	v_fma_mixhi_f16 v2, s33, v50, 0
	v_fma_mixhi_f16 v1, s33, v5, 0
	s_waitcnt vmcnt(0)
	global_store_dwordx4 v4, v[0:3], s[4:5]
.LBB25_40:
	s_or_b64 exec, exec, s[6:7]
	v_sub_f32_e32 v50, v129, v184
	v_sub_f32_e32 v51, v131, v185
	v_sub_f32_e32 v52, v133, v186
	v_sub_f32_e32 v53, v147, v187
	v_sub_f32_e32 v54, v148, v188
	v_sub_f32_e32 v55, v149, v189
	v_sub_f32_e32 v56, v150, v190
	v_sub_f32_e32 v57, v151, v191
	v_sub_f32_e32 v58, v192, v200
	v_sub_f32_e32 v59, v193, v201
	v_sub_f32_e32 v60, v194, v202
	v_sub_f32_e32 v61, v195, v203
	v_sub_f32_e32 v62, v196, v204
	v_sub_f32_e32 v63, v197, v205
	v_sub_f32_e32 v64, v198, v206
	v_sub_f32_e32 v65, v199, v207
	s_and_saveexec_b64 s[6:7], s[36:37]
	s_cbranch_execz .LBB25_42
; %bb.41:
	v_add_f32_e32 v0, v50, v58
	v_add_f32_e32 v4, v51, v59
	v_fma_mixlo_f16 v0, s33, v0, 0
	v_fma_mixhi_f16 v0, s33, v4, 0
	buffer_load_dword v4, off, s[48:51], 0 offset:20 ; 4-byte Folded Reload
	v_add_f32_e32 v1, v52, v60
	v_add_f32_e32 v2, v54, v62
	v_add_f32_e32 v3, v56, v64
	v_add_f32_e32 v5, v53, v61
	v_add_f32_e32 v129, v55, v63
	v_add_f32_e32 v131, v57, v65
	v_fma_mixlo_f16 v1, s33, v1, 0
	v_fma_mixlo_f16 v2, s33, v2, 0
	v_fma_mixlo_f16 v3, s33, v3, 0
	v_fma_mixhi_f16 v3, s33, v131, 0
	v_fma_mixhi_f16 v2, s33, v129, 0
	v_fma_mixhi_f16 v1, s33, v5, 0
	s_waitcnt vmcnt(0)
	global_store_dwordx4 v4, v[0:3], s[4:5]
.LBB25_42:
	s_or_b64 exec, exec, s[6:7]
	v_sub_f32_e32 v66, v146, v66
	v_sub_f32_e32 v67, v208, v67
	v_sub_f32_e32 v68, v209, v68
	v_sub_f32_e32 v69, v210, v69
	v_sub_f32_e32 v44, v44, v70
	v_sub_f32_e32 v45, v45, v71
	v_sub_f32_e32 v70, v211, v72
	v_sub_f32_e32 v71, v212, v73
	v_sub_f32_e32 v80, v74, v80
	v_sub_f32_e32 v81, v75, v81
	v_sub_f32_e32 v82, v76, v82
	v_sub_f32_e32 v83, v77, v83
	v_sub_f32_e32 v84, v78, v84
	v_sub_f32_e32 v85, v79, v85
	v_sub_f32_e32 v86, v86, v88
	v_sub_f32_e32 v87, v87, v89
	;; [unrolled: 40-line block ×4, first 2 shown]
	s_and_saveexec_b64 s[0:1], vcc
	s_cbranch_execnz .LBB25_56
; %bb.47:
	s_or_b64 exec, exec, s[0:1]
	s_and_saveexec_b64 s[0:1], s[38:39]
	s_cbranch_execnz .LBB25_57
.LBB25_48:
	s_or_b64 exec, exec, s[0:1]
	s_and_saveexec_b64 s[0:1], s[10:11]
	s_cbranch_execnz .LBB25_58
.LBB25_49:
	s_or_b64 exec, exec, s[0:1]
	s_and_saveexec_b64 s[0:1], s[12:13]
	s_cbranch_execnz .LBB25_59
.LBB25_50:
	s_or_b64 exec, exec, s[0:1]
	s_and_saveexec_b64 s[0:1], s[16:17]
	s_cbranch_execnz .LBB25_60
.LBB25_51:
	s_or_b64 exec, exec, s[0:1]
	s_and_saveexec_b64 s[0:1], s[18:19]
	s_cbranch_execnz .LBB25_61
.LBB25_52:
	s_or_b64 exec, exec, s[0:1]
	s_and_saveexec_b64 s[0:1], s[20:21]
	s_cbranch_execnz .LBB25_62
.LBB25_53:
	s_or_b64 exec, exec, s[0:1]
	s_and_saveexec_b64 s[0:1], s[24:25]
	s_cbranch_execnz .LBB25_63
.LBB25_54:
	s_or_b64 exec, exec, s[0:1]
	s_and_saveexec_b64 s[0:1], s[26:27]
	s_cbranch_execnz .LBB25_64
.LBB25_55:
	s_endpgm
.LBB25_56:
	v_add_f32_e32 v0, v89, v105
	v_add_f32_e32 v4, v88, v104
	v_fma_mixlo_f16 v0, s33, v0, 0
	v_fma_mixhi_f16 v0, s33, v4, 0
	buffer_load_dword v4, off, s[48:51], 0 offset:8 ; 4-byte Folded Reload
	v_add_f32_e32 v1, v91, v107
	v_add_f32_e32 v2, v93, v109
	;; [unrolled: 1-line block ×6, first 2 shown]
	v_fma_mixlo_f16 v1, s33, v1, 0
	v_fma_mixlo_f16 v2, s33, v2, 0
	;; [unrolled: 1-line block ×3, first 2 shown]
	v_fma_mixhi_f16 v3, s33, v113, 0
	v_fma_mixhi_f16 v2, s33, v112, 0
	;; [unrolled: 1-line block ×3, first 2 shown]
	s_waitcnt vmcnt(0)
	global_store_dwordx4 v4, v[0:3], s[4:5]
	s_or_b64 exec, exec, s[0:1]
	s_and_saveexec_b64 s[0:1], s[38:39]
	s_cbranch_execz .LBB25_48
.LBB25_57:
	buffer_load_dword v0, off, s[48:51], 0 offset:72 ; 4-byte Folded Reload
	buffer_load_dword v1, off, s[48:51], 0 offset:104 ; 4-byte Folded Reload
	s_waitcnt vmcnt(0)
	v_sub_f32_e32 v0, v0, v1
	buffer_load_dword v1, off, s[48:51], 0 offset:76 ; 4-byte Folded Reload
	buffer_load_dword v2, off, s[48:51], 0 offset:108 ; 4-byte Folded Reload
	v_fma_mixlo_f16 v0, s33, v0, 0
	s_waitcnt vmcnt(0)
	v_sub_f32_e32 v4, v1, v2
	buffer_load_dword v1, off, s[48:51], 0 offset:80 ; 4-byte Folded Reload
	buffer_load_dword v2, off, s[48:51], 0 offset:112 ; 4-byte Folded Reload
	v_fma_mixhi_f16 v0, s33, v4, 0
	s_waitcnt vmcnt(0)
	v_sub_f32_e32 v1, v1, v2
	buffer_load_dword v2, off, s[48:51], 0 offset:84 ; 4-byte Folded Reload
	buffer_load_dword v3, off, s[48:51], 0 offset:116 ; 4-byte Folded Reload
	v_fma_mixlo_f16 v1, s33, v1, 0
	s_waitcnt vmcnt(0)
	v_sub_f32_e32 v5, v2, v3
	buffer_load_dword v2, off, s[48:51], 0 offset:88 ; 4-byte Folded Reload
	buffer_load_dword v3, off, s[48:51], 0 offset:120 ; 4-byte Folded Reload
	v_fma_mixhi_f16 v1, s33, v5, 0
	;; [unrolled: 10-line block ×3, first 2 shown]
	s_waitcnt vmcnt(0)
	v_sub_f32_e32 v3, v3, v113
	buffer_load_dword v113, off, s[48:51], 0 offset:100 ; 4-byte Folded Reload
	buffer_load_dword v114, off, s[48:51], 0 offset:132 ; 4-byte Folded Reload
	;; [unrolled: 1-line block ×3, first 2 shown]
	v_fma_mixlo_f16 v3, s33, v3, 0
	s_waitcnt vmcnt(1)
	v_sub_f32_e32 v113, v113, v114
	v_fma_mixhi_f16 v3, s33, v113, 0
	s_waitcnt vmcnt(0)
	global_store_dwordx4 v4, v[0:3], s[4:5]
	s_or_b64 exec, exec, s[0:1]
	s_and_saveexec_b64 s[0:1], s[10:11]
	s_cbranch_execz .LBB25_49
.LBB25_58:
	buffer_load_dword v0, off, s[48:51], 0 offset:136 ; 4-byte Folded Reload
	buffer_load_dword v1, off, s[48:51], 0 offset:140 ; 4-byte Folded Reload
	;; [unrolled: 1-line block ×4, first 2 shown]
	s_waitcnt vmcnt(3)
	v_sub_f32_e32 v0, v0, v8
	s_waitcnt vmcnt(2)
	v_sub_f32_e32 v4, v1, v9
	buffer_load_dword v1, off, s[48:51], 0 offset:144 ; 4-byte Folded Reload
	s_waitcnt vmcnt(2)
	v_sub_f32_e32 v5, v2, v11
	buffer_load_dword v2, off, s[48:51], 0 offset:152 ; 4-byte Folded Reload
	v_fma_mixlo_f16 v0, s33, v0, 0
	v_fma_mixhi_f16 v0, s33, v4, 0
	buffer_load_dword v4, off, s[48:51], 0 offset:32 ; 4-byte Folded Reload
	s_waitcnt vmcnt(3)
	v_sub_f32_e32 v8, v3, v13
	v_sub_f32_e32 v3, v6, v14
	v_sub_f32_e32 v6, v7, v15
	v_fma_mixlo_f16 v3, s33, v3, 0
	v_fma_mixhi_f16 v3, s33, v6, 0
	s_waitcnt vmcnt(2)
	v_sub_f32_e32 v1, v1, v10
	v_fma_mixlo_f16 v1, s33, v1, 0
	s_waitcnt vmcnt(1)
	v_sub_f32_e32 v2, v2, v12
	v_fma_mixlo_f16 v2, s33, v2, 0
	v_fma_mixhi_f16 v2, s33, v8, 0
	v_fma_mixhi_f16 v1, s33, v5, 0
	s_waitcnt vmcnt(0)
	global_store_dwordx4 v4, v[0:3], s[4:5]
	s_or_b64 exec, exec, s[0:1]
	s_and_saveexec_b64 s[0:1], s[12:13]
	s_cbranch_execz .LBB25_50
.LBB25_59:
	v_sub_f32_e32 v0, v16, v24
	v_sub_f32_e32 v4, v17, v25
	v_fma_mixlo_f16 v0, s33, v0, 0
	v_fma_mixhi_f16 v0, s33, v4, 0
	buffer_load_dword v4, off, s[48:51], 0 offset:36 ; 4-byte Folded Reload
	v_sub_f32_e32 v1, v18, v26
	v_sub_f32_e32 v2, v20, v28
	;; [unrolled: 1-line block ×6, first 2 shown]
	v_fma_mixlo_f16 v1, s33, v1, 0
	v_fma_mixlo_f16 v2, s33, v2, 0
	;; [unrolled: 1-line block ×3, first 2 shown]
	v_fma_mixhi_f16 v3, s33, v7, 0
	v_fma_mixhi_f16 v2, s33, v6, 0
	v_fma_mixhi_f16 v1, s33, v5, 0
	s_waitcnt vmcnt(0)
	global_store_dwordx4 v4, v[0:3], s[4:5]
	s_or_b64 exec, exec, s[0:1]
	s_and_saveexec_b64 s[0:1], s[16:17]
	s_cbranch_execz .LBB25_51
.LBB25_60:
	v_sub_f32_e32 v0, v32, v40
	v_sub_f32_e32 v4, v33, v41
	v_fma_mixlo_f16 v0, s33, v0, 0
	v_fma_mixhi_f16 v0, s33, v4, 0
	buffer_load_dword v4, off, s[48:51], 0 offset:40 ; 4-byte Folded Reload
	v_sub_f32_e32 v1, v34, v42
	v_sub_f32_e32 v2, v36, v46
	;; [unrolled: 1-line block ×6, first 2 shown]
	v_fma_mixlo_f16 v1, s33, v1, 0
	v_fma_mixlo_f16 v2, s33, v2, 0
	;; [unrolled: 1-line block ×3, first 2 shown]
	v_fma_mixhi_f16 v3, s33, v7, 0
	v_fma_mixhi_f16 v2, s33, v6, 0
	;; [unrolled: 1-line block ×3, first 2 shown]
	s_waitcnt vmcnt(0)
	global_store_dwordx4 v4, v[0:3], s[4:5]
	s_or_b64 exec, exec, s[0:1]
	s_and_saveexec_b64 s[0:1], s[18:19]
	s_cbranch_execz .LBB25_52
.LBB25_61:
	v_sub_f32_e32 v0, v50, v58
	v_sub_f32_e32 v4, v51, v59
	v_fma_mixlo_f16 v0, s33, v0, 0
	v_fma_mixhi_f16 v0, s33, v4, 0
	buffer_load_dword v4, off, s[48:51], 0 offset:48 ; 4-byte Folded Reload
	v_sub_f32_e32 v1, v52, v60
	v_sub_f32_e32 v2, v54, v62
	;; [unrolled: 1-line block ×6, first 2 shown]
	v_fma_mixlo_f16 v1, s33, v1, 0
	v_fma_mixlo_f16 v2, s33, v2, 0
	;; [unrolled: 1-line block ×3, first 2 shown]
	v_fma_mixhi_f16 v3, s33, v7, 0
	v_fma_mixhi_f16 v2, s33, v6, 0
	v_fma_mixhi_f16 v1, s33, v5, 0
	s_waitcnt vmcnt(0)
	global_store_dwordx4 v4, v[0:3], s[4:5]
	s_or_b64 exec, exec, s[0:1]
	s_and_saveexec_b64 s[0:1], s[20:21]
	s_cbranch_execz .LBB25_53
.LBB25_62:
	buffer_load_dword v4, off, s[48:51], 0 offset:52 ; 4-byte Folded Reload
	buffer_load_dword v5, off, s[48:51], 0 offset:56 ; 4-byte Folded Reload
	s_waitcnt vmcnt(0)
	v_mov_b32_e32 v5, 0
	v_sub_f32_e32 v0, v66, v80
	v_sub_f32_e32 v1, v68, v82
	;; [unrolled: 1-line block ×8, first 2 shown]
	v_fma_mixlo_f16 v0, s33, v0, 0
	v_fma_mixlo_f16 v1, s33, v1, 0
	;; [unrolled: 1-line block ×4, first 2 shown]
	v_mov_b32_e32 v10, s5
	v_fma_mixhi_f16 v3, s33, v9, 0
	v_fma_mixhi_f16 v2, s33, v8, 0
	;; [unrolled: 1-line block ×4, first 2 shown]
	v_lshlrev_b64 v[4:5], 4, v[4:5]
	v_add_co_u32_e32 v4, vcc, s4, v4
	v_addc_co_u32_e32 v5, vcc, v10, v5, vcc
	global_store_dwordx4 v[4:5], v[0:3], off
	s_or_b64 exec, exec, s[0:1]
	s_and_saveexec_b64 s[0:1], s[24:25]
	s_cbranch_execz .LBB25_54
.LBB25_63:
	buffer_load_dword v4, off, s[48:51], 0 offset:64 ; 4-byte Folded Reload
	buffer_load_dword v5, off, s[48:51], 0 offset:68 ; 4-byte Folded Reload
	s_waitcnt vmcnt(0)
	v_mov_b32_e32 v5, 0
	v_sub_f32_e32 v0, v72, v96
	v_sub_f32_e32 v1, v74, v98
	;; [unrolled: 1-line block ×8, first 2 shown]
	v_fma_mixlo_f16 v0, s33, v0, 0
	v_fma_mixlo_f16 v1, s33, v1, 0
	;; [unrolled: 1-line block ×4, first 2 shown]
	v_mov_b32_e32 v10, s5
	v_fma_mixhi_f16 v3, s33, v9, 0
	v_fma_mixhi_f16 v2, s33, v8, 0
	v_fma_mixhi_f16 v1, s33, v7, 0
	v_fma_mixhi_f16 v0, s33, v6, 0
	v_lshlrev_b64 v[4:5], 4, v[4:5]
	v_add_co_u32_e32 v4, vcc, s4, v4
	v_addc_co_u32_e32 v5, vcc, v10, v5, vcc
	global_store_dwordx4 v[4:5], v[0:3], off
	s_or_b64 exec, exec, s[0:1]
	s_and_saveexec_b64 s[0:1], s[26:27]
	s_cbranch_execz .LBB25_55
.LBB25_64:
	buffer_load_dword v4, off, s[48:51], 0  ; 4-byte Folded Reload
	buffer_load_dword v5, off, s[48:51], 0 offset:4 ; 4-byte Folded Reload
	s_waitcnt vmcnt(0)
	v_mov_b32_e32 v5, 0
	v_sub_f32_e32 v0, v89, v105
	v_sub_f32_e32 v1, v91, v107
	v_sub_f32_e32 v2, v93, v109
	v_sub_f32_e32 v3, v95, v111
	v_sub_f32_e32 v6, v88, v104
	v_sub_f32_e32 v7, v90, v106
	v_sub_f32_e32 v8, v92, v108
	v_sub_f32_e32 v9, v94, v110
	v_fma_mixlo_f16 v0, s33, v0, 0
	v_fma_mixlo_f16 v1, s33, v1, 0
	;; [unrolled: 1-line block ×4, first 2 shown]
	v_mov_b32_e32 v10, s5
	v_fma_mixhi_f16 v3, s33, v9, 0
	v_fma_mixhi_f16 v2, s33, v8, 0
	v_fma_mixhi_f16 v1, s33, v7, 0
	v_fma_mixhi_f16 v0, s33, v6, 0
	v_lshlrev_b64 v[4:5], 4, v[4:5]
	v_add_co_u32_e32 v4, vcc, s4, v4
	v_addc_co_u32_e32 v5, vcc, v10, v5, vcc
	global_store_dwordx4 v[4:5], v[0:3], off
	s_endpgm
	.section	.rodata,"a",@progbits
	.p2align	6, 0x0
	.amdhsa_kernel _Z30fast_hadamard_transform_kernelI37fast_hadamard_transform_kernel_traitsILi256ELi15E6__halfEEv18HadamardParamsBase
		.amdhsa_group_segment_fixed_size 0
		.amdhsa_private_segment_fixed_size 164
		.amdhsa_kernarg_size 312
		.amdhsa_user_sgpr_count 6
		.amdhsa_user_sgpr_private_segment_buffer 1
		.amdhsa_user_sgpr_dispatch_ptr 0
		.amdhsa_user_sgpr_queue_ptr 0
		.amdhsa_user_sgpr_kernarg_segment_ptr 1
		.amdhsa_user_sgpr_dispatch_id 0
		.amdhsa_user_sgpr_flat_scratch_init 0
		.amdhsa_user_sgpr_private_segment_size 0
		.amdhsa_uses_dynamic_stack 0
		.amdhsa_system_sgpr_private_segment_wavefront_offset 1
		.amdhsa_system_sgpr_workgroup_id_x 1
		.amdhsa_system_sgpr_workgroup_id_y 0
		.amdhsa_system_sgpr_workgroup_id_z 0
		.amdhsa_system_sgpr_workgroup_info 0
		.amdhsa_system_vgpr_workitem_id 0
		.amdhsa_next_free_vgpr 256
		.amdhsa_next_free_sgpr 52
		.amdhsa_reserve_vcc 1
		.amdhsa_reserve_flat_scratch 0
		.amdhsa_float_round_mode_32 0
		.amdhsa_float_round_mode_16_64 0
		.amdhsa_float_denorm_mode_32 3
		.amdhsa_float_denorm_mode_16_64 3
		.amdhsa_dx10_clamp 1
		.amdhsa_ieee_mode 1
		.amdhsa_fp16_overflow 0
		.amdhsa_exception_fp_ieee_invalid_op 0
		.amdhsa_exception_fp_denorm_src 0
		.amdhsa_exception_fp_ieee_div_zero 0
		.amdhsa_exception_fp_ieee_overflow 0
		.amdhsa_exception_fp_ieee_underflow 0
		.amdhsa_exception_fp_ieee_inexact 0
		.amdhsa_exception_int_div_zero 0
	.end_amdhsa_kernel
	.section	.text._Z30fast_hadamard_transform_kernelI37fast_hadamard_transform_kernel_traitsILi256ELi15E6__halfEEv18HadamardParamsBase,"axG",@progbits,_Z30fast_hadamard_transform_kernelI37fast_hadamard_transform_kernel_traitsILi256ELi15E6__halfEEv18HadamardParamsBase,comdat
.Lfunc_end25:
	.size	_Z30fast_hadamard_transform_kernelI37fast_hadamard_transform_kernel_traitsILi256ELi15E6__halfEEv18HadamardParamsBase, .Lfunc_end25-_Z30fast_hadamard_transform_kernelI37fast_hadamard_transform_kernel_traitsILi256ELi15E6__halfEEv18HadamardParamsBase
                                        ; -- End function
	.set _Z30fast_hadamard_transform_kernelI37fast_hadamard_transform_kernel_traitsILi256ELi15E6__halfEEv18HadamardParamsBase.num_vgpr, 256
	.set _Z30fast_hadamard_transform_kernelI37fast_hadamard_transform_kernel_traitsILi256ELi15E6__halfEEv18HadamardParamsBase.num_agpr, 0
	.set _Z30fast_hadamard_transform_kernelI37fast_hadamard_transform_kernel_traitsILi256ELi15E6__halfEEv18HadamardParamsBase.numbered_sgpr, 52
	.set _Z30fast_hadamard_transform_kernelI37fast_hadamard_transform_kernel_traitsILi256ELi15E6__halfEEv18HadamardParamsBase.num_named_barrier, 0
	.set _Z30fast_hadamard_transform_kernelI37fast_hadamard_transform_kernel_traitsILi256ELi15E6__halfEEv18HadamardParamsBase.private_seg_size, 164
	.set _Z30fast_hadamard_transform_kernelI37fast_hadamard_transform_kernel_traitsILi256ELi15E6__halfEEv18HadamardParamsBase.uses_vcc, 1
	.set _Z30fast_hadamard_transform_kernelI37fast_hadamard_transform_kernel_traitsILi256ELi15E6__halfEEv18HadamardParamsBase.uses_flat_scratch, 0
	.set _Z30fast_hadamard_transform_kernelI37fast_hadamard_transform_kernel_traitsILi256ELi15E6__halfEEv18HadamardParamsBase.has_dyn_sized_stack, 0
	.set _Z30fast_hadamard_transform_kernelI37fast_hadamard_transform_kernel_traitsILi256ELi15E6__halfEEv18HadamardParamsBase.has_recursion, 0
	.set _Z30fast_hadamard_transform_kernelI37fast_hadamard_transform_kernel_traitsILi256ELi15E6__halfEEv18HadamardParamsBase.has_indirect_call, 0
	.section	.AMDGPU.csdata,"",@progbits
; Kernel info:
; codeLenInByte = 34232
; TotalNumSgprs: 56
; NumVgprs: 256
; ScratchSize: 164
; MemoryBound: 0
; FloatMode: 240
; IeeeMode: 1
; LDSByteSize: 0 bytes/workgroup (compile time only)
; SGPRBlocks: 6
; VGPRBlocks: 63
; NumSGPRsForWavesPerEU: 56
; NumVGPRsForWavesPerEU: 256
; Occupancy: 1
; WaveLimiterHint : 0
; COMPUTE_PGM_RSRC2:SCRATCH_EN: 1
; COMPUTE_PGM_RSRC2:USER_SGPR: 6
; COMPUTE_PGM_RSRC2:TRAP_HANDLER: 0
; COMPUTE_PGM_RSRC2:TGID_X_EN: 1
; COMPUTE_PGM_RSRC2:TGID_Y_EN: 0
; COMPUTE_PGM_RSRC2:TGID_Z_EN: 0
; COMPUTE_PGM_RSRC2:TIDIG_COMP_CNT: 0
	.section	.text._Z30fast_hadamard_transform_kernelI37fast_hadamard_transform_kernel_traitsILi1ELi3E14__hip_bfloat16EEv18HadamardParamsBase,"axG",@progbits,_Z30fast_hadamard_transform_kernelI37fast_hadamard_transform_kernel_traitsILi1ELi3E14__hip_bfloat16EEv18HadamardParamsBase,comdat
	.protected	_Z30fast_hadamard_transform_kernelI37fast_hadamard_transform_kernel_traitsILi1ELi3E14__hip_bfloat16EEv18HadamardParamsBase ; -- Begin function _Z30fast_hadamard_transform_kernelI37fast_hadamard_transform_kernel_traitsILi1ELi3E14__hip_bfloat16EEv18HadamardParamsBase
	.globl	_Z30fast_hadamard_transform_kernelI37fast_hadamard_transform_kernel_traitsILi1ELi3E14__hip_bfloat16EEv18HadamardParamsBase
	.p2align	8
	.type	_Z30fast_hadamard_transform_kernelI37fast_hadamard_transform_kernel_traitsILi1ELi3E14__hip_bfloat16EEv18HadamardParamsBase,@function
_Z30fast_hadamard_transform_kernelI37fast_hadamard_transform_kernel_traitsILi1ELi3E14__hip_bfloat16EEv18HadamardParamsBase: ; @_Z30fast_hadamard_transform_kernelI37fast_hadamard_transform_kernel_traitsILi1ELi3E14__hip_bfloat16EEv18HadamardParamsBase
; %bb.0:
	s_load_dword s0, s[4:5], 0x4
	s_waitcnt lgkmcnt(0)
	s_cmp_eq_u32 s0, 0
	s_cbranch_scc1 .LBB26_2
; %bb.1:
	s_load_dwordx4 s[8:11], s[4:5], 0x10
	s_load_dword s16, s[4:5], 0x20
	s_load_dwordx4 s[12:15], s[4:5], 0x28
	s_ashr_i32 s2, s6, 31
	v_mov_b32_e32 v4, 0
	s_waitcnt lgkmcnt(0)
	s_mul_hi_u32 s0, s10, s6
	s_mul_i32 s1, s10, s2
	s_add_i32 s0, s0, s1
	s_mul_i32 s1, s11, s6
	s_add_i32 s1, s0, s1
	s_mul_i32 s0, s10, s6
	s_lshl_b64 s[0:1], s[0:1], 1
	s_add_u32 s0, s14, s0
	s_mul_hi_u32 s3, s8, s6
	s_mul_i32 s2, s8, s2
	s_addc_u32 s1, s15, s1
	s_add_i32 s2, s3, s2
	s_mul_i32 s3, s9, s6
	s_add_i32 s3, s2, s3
	s_mul_i32 s2, s8, s6
	s_lshl_b64 s[2:3], s[2:3], 1
	s_add_u32 s2, s12, s2
	s_addc_u32 s3, s13, s3
	s_load_dwordx4 s[4:7], s[2:3], 0x0
	s_waitcnt lgkmcnt(0)
	s_lshl_b32 s2, s4, 16
	s_and_b32 s3, s4, 0xffff0000
	s_lshl_b32 s4, s5, 16
	s_and_b32 s5, s5, 0xffff0000
	;; [unrolled: 2-line block ×4, first 2 shown]
	v_mov_b32_e32 v0, s3
	v_mov_b32_e32 v2, s5
	;; [unrolled: 1-line block ×4, first 2 shown]
	v_sub_f32_e32 v1, s2, v0
	v_sub_f32_e32 v3, s4, v2
	;; [unrolled: 1-line block ×6, first 2 shown]
	v_add_f32_e32 v0, s2, v0
	v_add_f32_e32 v2, s4, v2
	;; [unrolled: 1-line block ×4, first 2 shown]
	v_sub_f32_e32 v11, v5, v10
	v_add_f32_e32 v5, v5, v10
	v_sub_f32_e32 v10, v0, v2
	v_add_f32_e32 v1, v1, v3
	v_add_f32_e32 v3, v7, v9
	;; [unrolled: 1-line block ×4, first 2 shown]
	v_sub_f32_e32 v7, v1, v3
	v_add_f32_e32 v1, v1, v3
	v_sub_f32_e32 v3, v0, v2
	v_add_f32_e32 v0, v0, v2
	v_mul_f32_e32 v2, s16, v11
	v_sub_f32_e32 v12, v6, v8
	v_bfe_u32 v6, v2, 16, 1
	v_add_u32_e32 v6, v6, v2
	v_sub_f32_e32 v13, v10, v12
	v_add_u32_e32 v6, 0x7fff, v6
	v_or_b32_e32 v8, 0x400000, v2
	v_cmp_u_f32_e32 vcc, v2, v2
	v_cndmask_b32_e32 v2, v6, v8, vcc
	v_mul_f32_e32 v6, s16, v13
	v_bfe_u32 v8, v6, 16, 1
	v_add_u32_e32 v8, v8, v6
	v_add_u32_e32 v8, 0x7fff, v8
	v_or_b32_e32 v9, 0x400000, v6
	v_cmp_u_f32_e32 vcc, v6, v6
	v_mul_f32_e32 v7, s16, v7
	v_cndmask_b32_e32 v6, v8, v9, vcc
	v_bfe_u32 v8, v7, 16, 1
	v_add_u32_e32 v8, v8, v7
	v_add_u32_e32 v8, 0x7fff, v8
	v_or_b32_e32 v9, 0x400000, v7
	v_cmp_u_f32_e32 vcc, v7, v7
	v_mul_f32_e32 v3, s16, v3
	v_cndmask_b32_e32 v7, v8, v9, vcc
	v_bfe_u32 v8, v3, 16, 1
	v_add_u32_e32 v8, v8, v3
	v_or_b32_e32 v9, 0x400000, v3
	v_cmp_u_f32_e32 vcc, v3, v3
	v_mul_f32_e32 v3, s16, v5
	v_bfe_u32 v5, v3, 16, 1
	v_add_u32_e32 v8, 0x7fff, v8
	v_add_u32_e32 v5, v5, v3
	v_cndmask_b32_e32 v8, v8, v9, vcc
	v_add_u32_e32 v5, 0x7fff, v5
	v_or_b32_e32 v9, 0x400000, v3
	v_cmp_u_f32_e32 vcc, v3, v3
	v_add_f32_e32 v10, v10, v12
	v_cndmask_b32_e32 v3, v5, v9, vcc
	v_lshrrev_b32_e32 v5, 16, v3
	v_mul_f32_e32 v3, s16, v10
	v_bfe_u32 v9, v3, 16, 1
	v_mul_f32_e32 v1, s16, v1
	v_add_u32_e32 v9, v9, v3
	v_or_b32_e32 v10, 0x400000, v3
	v_cmp_u_f32_e32 vcc, v3, v3
	v_bfe_u32 v3, v1, 16, 1
	v_add_u32_e32 v9, 0x7fff, v9
	v_add_u32_e32 v3, v3, v1
	v_cndmask_b32_e32 v9, v9, v10, vcc
	v_add_u32_e32 v3, 0x7fff, v3
	v_or_b32_e32 v10, 0x400000, v1
	v_cmp_u_f32_e32 vcc, v1, v1
	v_cndmask_b32_e32 v1, v3, v10, vcc
	v_mul_f32_e32 v0, s16, v0
	v_lshrrev_b32_e32 v10, 16, v1
	v_bfe_u32 v1, v0, 16, 1
	v_add_u32_e32 v1, v1, v0
	v_add_u32_e32 v1, 0x7fff, v1
	v_or_b32_e32 v3, 0x400000, v0
	v_cmp_u_f32_e32 vcc, v0, v0
	v_mov_b32_e32 v11, 0xffff
	v_lshrrev_b32_e32 v2, 16, v2
	v_cndmask_b32_e32 v0, v1, v3, vcc
	v_and_b32_sdwa v1, v11, v6 dst_sel:DWORD dst_unused:UNUSED_PAD src0_sel:DWORD src1_sel:WORD_1
	v_lshrrev_b32_e32 v7, 16, v7
	v_lshl_or_b32 v3, v2, 16, v1
	v_and_b32_sdwa v1, v11, v8 dst_sel:DWORD dst_unused:UNUSED_PAD src0_sel:DWORD src1_sel:WORD_1
	v_lshl_or_b32 v2, v7, 16, v1
	v_and_b32_sdwa v1, v11, v9 dst_sel:DWORD dst_unused:UNUSED_PAD src0_sel:DWORD src1_sel:WORD_1
	v_and_b32_sdwa v0, v11, v0 dst_sel:DWORD dst_unused:UNUSED_PAD src0_sel:DWORD src1_sel:WORD_1
	v_lshl_or_b32 v1, v5, 16, v1
	v_lshl_or_b32 v0, v10, 16, v0
	global_store_dwordx4 v4, v[0:3], s[0:1]
.LBB26_2:
	s_endpgm
	.section	.rodata,"a",@progbits
	.p2align	6, 0x0
	.amdhsa_kernel _Z30fast_hadamard_transform_kernelI37fast_hadamard_transform_kernel_traitsILi1ELi3E14__hip_bfloat16EEv18HadamardParamsBase
		.amdhsa_group_segment_fixed_size 0
		.amdhsa_private_segment_fixed_size 0
		.amdhsa_kernarg_size 56
		.amdhsa_user_sgpr_count 6
		.amdhsa_user_sgpr_private_segment_buffer 1
		.amdhsa_user_sgpr_dispatch_ptr 0
		.amdhsa_user_sgpr_queue_ptr 0
		.amdhsa_user_sgpr_kernarg_segment_ptr 1
		.amdhsa_user_sgpr_dispatch_id 0
		.amdhsa_user_sgpr_flat_scratch_init 0
		.amdhsa_user_sgpr_private_segment_size 0
		.amdhsa_uses_dynamic_stack 0
		.amdhsa_system_sgpr_private_segment_wavefront_offset 0
		.amdhsa_system_sgpr_workgroup_id_x 1
		.amdhsa_system_sgpr_workgroup_id_y 0
		.amdhsa_system_sgpr_workgroup_id_z 0
		.amdhsa_system_sgpr_workgroup_info 0
		.amdhsa_system_vgpr_workitem_id 0
		.amdhsa_next_free_vgpr 14
		.amdhsa_next_free_sgpr 17
		.amdhsa_reserve_vcc 1
		.amdhsa_reserve_flat_scratch 0
		.amdhsa_float_round_mode_32 0
		.amdhsa_float_round_mode_16_64 0
		.amdhsa_float_denorm_mode_32 3
		.amdhsa_float_denorm_mode_16_64 3
		.amdhsa_dx10_clamp 1
		.amdhsa_ieee_mode 1
		.amdhsa_fp16_overflow 0
		.amdhsa_exception_fp_ieee_invalid_op 0
		.amdhsa_exception_fp_denorm_src 0
		.amdhsa_exception_fp_ieee_div_zero 0
		.amdhsa_exception_fp_ieee_overflow 0
		.amdhsa_exception_fp_ieee_underflow 0
		.amdhsa_exception_fp_ieee_inexact 0
		.amdhsa_exception_int_div_zero 0
	.end_amdhsa_kernel
	.section	.text._Z30fast_hadamard_transform_kernelI37fast_hadamard_transform_kernel_traitsILi1ELi3E14__hip_bfloat16EEv18HadamardParamsBase,"axG",@progbits,_Z30fast_hadamard_transform_kernelI37fast_hadamard_transform_kernel_traitsILi1ELi3E14__hip_bfloat16EEv18HadamardParamsBase,comdat
.Lfunc_end26:
	.size	_Z30fast_hadamard_transform_kernelI37fast_hadamard_transform_kernel_traitsILi1ELi3E14__hip_bfloat16EEv18HadamardParamsBase, .Lfunc_end26-_Z30fast_hadamard_transform_kernelI37fast_hadamard_transform_kernel_traitsILi1ELi3E14__hip_bfloat16EEv18HadamardParamsBase
                                        ; -- End function
	.set _Z30fast_hadamard_transform_kernelI37fast_hadamard_transform_kernel_traitsILi1ELi3E14__hip_bfloat16EEv18HadamardParamsBase.num_vgpr, 14
	.set _Z30fast_hadamard_transform_kernelI37fast_hadamard_transform_kernel_traitsILi1ELi3E14__hip_bfloat16EEv18HadamardParamsBase.num_agpr, 0
	.set _Z30fast_hadamard_transform_kernelI37fast_hadamard_transform_kernel_traitsILi1ELi3E14__hip_bfloat16EEv18HadamardParamsBase.numbered_sgpr, 17
	.set _Z30fast_hadamard_transform_kernelI37fast_hadamard_transform_kernel_traitsILi1ELi3E14__hip_bfloat16EEv18HadamardParamsBase.num_named_barrier, 0
	.set _Z30fast_hadamard_transform_kernelI37fast_hadamard_transform_kernel_traitsILi1ELi3E14__hip_bfloat16EEv18HadamardParamsBase.private_seg_size, 0
	.set _Z30fast_hadamard_transform_kernelI37fast_hadamard_transform_kernel_traitsILi1ELi3E14__hip_bfloat16EEv18HadamardParamsBase.uses_vcc, 1
	.set _Z30fast_hadamard_transform_kernelI37fast_hadamard_transform_kernel_traitsILi1ELi3E14__hip_bfloat16EEv18HadamardParamsBase.uses_flat_scratch, 0
	.set _Z30fast_hadamard_transform_kernelI37fast_hadamard_transform_kernel_traitsILi1ELi3E14__hip_bfloat16EEv18HadamardParamsBase.has_dyn_sized_stack, 0
	.set _Z30fast_hadamard_transform_kernelI37fast_hadamard_transform_kernel_traitsILi1ELi3E14__hip_bfloat16EEv18HadamardParamsBase.has_recursion, 0
	.set _Z30fast_hadamard_transform_kernelI37fast_hadamard_transform_kernel_traitsILi1ELi3E14__hip_bfloat16EEv18HadamardParamsBase.has_indirect_call, 0
	.section	.AMDGPU.csdata,"",@progbits
; Kernel info:
; codeLenInByte = 720
; TotalNumSgprs: 21
; NumVgprs: 14
; ScratchSize: 0
; MemoryBound: 0
; FloatMode: 240
; IeeeMode: 1
; LDSByteSize: 0 bytes/workgroup (compile time only)
; SGPRBlocks: 2
; VGPRBlocks: 3
; NumSGPRsForWavesPerEU: 21
; NumVGPRsForWavesPerEU: 14
; Occupancy: 10
; WaveLimiterHint : 0
; COMPUTE_PGM_RSRC2:SCRATCH_EN: 0
; COMPUTE_PGM_RSRC2:USER_SGPR: 6
; COMPUTE_PGM_RSRC2:TRAP_HANDLER: 0
; COMPUTE_PGM_RSRC2:TGID_X_EN: 1
; COMPUTE_PGM_RSRC2:TGID_Y_EN: 0
; COMPUTE_PGM_RSRC2:TGID_Z_EN: 0
; COMPUTE_PGM_RSRC2:TIDIG_COMP_CNT: 0
	.section	.text._Z30fast_hadamard_transform_kernelI37fast_hadamard_transform_kernel_traitsILi2ELi4E14__hip_bfloat16EEv18HadamardParamsBase,"axG",@progbits,_Z30fast_hadamard_transform_kernelI37fast_hadamard_transform_kernel_traitsILi2ELi4E14__hip_bfloat16EEv18HadamardParamsBase,comdat
	.protected	_Z30fast_hadamard_transform_kernelI37fast_hadamard_transform_kernel_traitsILi2ELi4E14__hip_bfloat16EEv18HadamardParamsBase ; -- Begin function _Z30fast_hadamard_transform_kernelI37fast_hadamard_transform_kernel_traitsILi2ELi4E14__hip_bfloat16EEv18HadamardParamsBase
	.globl	_Z30fast_hadamard_transform_kernelI37fast_hadamard_transform_kernel_traitsILi2ELi4E14__hip_bfloat16EEv18HadamardParamsBase
	.p2align	8
	.type	_Z30fast_hadamard_transform_kernelI37fast_hadamard_transform_kernel_traitsILi2ELi4E14__hip_bfloat16EEv18HadamardParamsBase,@function
_Z30fast_hadamard_transform_kernelI37fast_hadamard_transform_kernel_traitsILi2ELi4E14__hip_bfloat16EEv18HadamardParamsBase: ; @_Z30fast_hadamard_transform_kernelI37fast_hadamard_transform_kernel_traitsILi2ELi4E14__hip_bfloat16EEv18HadamardParamsBase
; %bb.0:
	s_load_dword s0, s[4:5], 0x4
	v_lshlrev_b32_e32 v1, 3, v0
	s_ashr_i32 s2, s6, 31
	v_mov_b32_e32 v2, 0
	v_mov_b32_e32 v3, 0
	s_waitcnt lgkmcnt(0)
	v_cmp_gt_u32_e32 vcc, s0, v1
	v_lshlrev_b32_e32 v1, 4, v0
	v_mov_b32_e32 v4, 0
	v_mov_b32_e32 v5, 0
	;; [unrolled: 1-line block ×6, first 2 shown]
	s_and_saveexec_b64 s[0:1], vcc
	s_cbranch_execz .LBB27_2
; %bb.1:
	s_load_dwordx2 s[8:9], s[4:5], 0x10
	s_load_dwordx2 s[10:11], s[4:5], 0x28
	s_waitcnt lgkmcnt(0)
	s_mul_i32 s3, s8, s2
	s_mul_hi_u32 s7, s8, s6
	s_mul_i32 s9, s9, s6
	s_add_i32 s3, s7, s3
	s_mul_i32 s8, s8, s6
	s_add_i32 s9, s3, s9
	s_lshl_b64 s[8:9], s[8:9], 1
	s_add_u32 s8, s10, s8
	s_addc_u32 s9, s11, s9
	global_load_dwordx4 v[10:13], v1, s[8:9]
	s_waitcnt vmcnt(0)
	v_lshlrev_b32_e32 v9, 16, v10
	v_and_b32_e32 v8, 0xffff0000, v10
	v_lshlrev_b32_e32 v7, 16, v11
	v_and_b32_e32 v6, 0xffff0000, v11
	;; [unrolled: 2-line block ×4, first 2 shown]
.LBB27_2:
	s_or_b64 exec, exec, s[0:1]
	v_add_f32_e32 v10, v8, v9
	v_sub_f32_e32 v8, v9, v8
	v_add_f32_e32 v9, v6, v7
	v_sub_f32_e32 v6, v7, v6
	;; [unrolled: 2-line block ×7, first 2 shown]
	v_sub_f32_e32 v12, v4, v2
	v_add_f32_e32 v7, v2, v4
	v_add_f32_e32 v2, v6, v3
	v_sub_f32_e32 v5, v3, v6
	v_add_f32_e32 v4, v11, v9
	v_sub_f32_e32 v9, v9, v11
	;; [unrolled: 2-line block ×3, first 2 shown]
	v_mbcnt_lo_u32_b32 v8, -1, 0
	v_mbcnt_hi_u32_b32 v8, -1, v8
	v_and_b32_e32 v12, 64, v8
	v_add_f32_e32 v3, v7, v10
	v_sub_f32_e32 v7, v10, v7
	v_xor_b32_e32 v10, 1, v8
	v_add_u32_e32 v12, 64, v12
	v_cmp_lt_i32_e64 s[0:1], v10, v12
	v_cndmask_b32_e64 v8, v8, v10, s[0:1]
	v_lshlrev_b32_e32 v17, 2, v8
	ds_bpermute_b32 v8, v17, v2
	ds_bpermute_b32 v10, v17, v3
	;; [unrolled: 1-line block ×8, first 2 shown]
	s_and_saveexec_b64 s[0:1], vcc
	s_cbranch_execz .LBB27_4
; %bb.3:
	s_load_dwordx2 s[0:1], s[4:5], 0x18
	s_load_dwordx2 s[8:9], s[4:5], 0x30
	s_load_dword s3, s[4:5], 0x20
	v_cmp_eq_u32_e32 vcc, 0, v0
	v_cndmask_b32_e64 v0, -v11, v11, vcc
	s_waitcnt lgkmcnt(0)
	s_mul_i32 s2, s0, s2
	s_mul_hi_u32 s4, s0, s6
	v_add_f32_e32 v0, v0, v17
	s_mul_i32 s1, s1, s6
	s_add_i32 s2, s4, s2
	v_cndmask_b32_e64 v2, -v2, v2, vcc
	v_mul_f32_e32 v0, s3, v0
	s_add_i32 s1, s2, s1
	v_cndmask_b32_e64 v9, -v9, v9, vcc
	v_cndmask_b32_e64 v3, -v3, v3, vcc
	v_add_f32_e32 v2, v2, v8
	v_bfe_u32 v8, v0, 16, 1
	s_movk_i32 s2, 0x7fff
	v_add_f32_e32 v9, v9, v16
	v_cndmask_b32_e64 v7, -v7, v7, vcc
	v_cndmask_b32_e64 v5, -v5, v5, vcc
	;; [unrolled: 1-line block ×4, first 2 shown]
	v_add_f32_e32 v3, v3, v10
	v_add3_u32 v8, v8, v0, s2
	v_or_b32_e32 v10, 0x400000, v0
	v_cmp_u_f32_e32 vcc, v0, v0
	v_cndmask_b32_e32 v0, v8, v10, vcc
	v_mul_f32_e32 v8, s3, v9
	v_add_f32_e32 v7, v7, v15
	v_bfe_u32 v9, v8, 16, 1
	v_add3_u32 v9, v9, v8, s2
	v_or_b32_e32 v10, 0x400000, v8
	v_cmp_u_f32_e32 vcc, v8, v8
	v_mul_f32_e32 v7, s3, v7
	v_add_f32_e32 v5, v5, v14
	v_cndmask_b32_e32 v8, v9, v10, vcc
	v_bfe_u32 v9, v7, 16, 1
	v_add3_u32 v9, v9, v7, s2
	v_or_b32_e32 v10, 0x400000, v7
	v_cmp_u_f32_e32 vcc, v7, v7
	v_mul_f32_e32 v5, s3, v5
	v_add_f32_e32 v6, v6, v13
	v_cndmask_b32_e32 v7, v9, v10, vcc
	v_bfe_u32 v9, v5, 16, 1
	v_add_f32_e32 v4, v4, v12
	v_add3_u32 v9, v9, v5, s2
	v_or_b32_e32 v10, 0x400000, v5
	v_cmp_u_f32_e32 vcc, v5, v5
	v_mul_f32_e32 v5, s3, v6
	v_bfe_u32 v6, v5, 16, 1
	v_mul_f32_e32 v4, s3, v4
	v_cndmask_b32_e32 v9, v9, v10, vcc
	v_add3_u32 v6, v6, v5, s2
	v_or_b32_e32 v10, 0x400000, v5
	v_cmp_u_f32_e32 vcc, v5, v5
	v_bfe_u32 v5, v4, 16, 1
	v_mul_f32_e32 v3, s3, v3
	v_cndmask_b32_e32 v6, v6, v10, vcc
	v_add3_u32 v5, v5, v4, s2
	v_or_b32_e32 v10, 0x400000, v4
	v_cmp_u_f32_e32 vcc, v4, v4
	v_bfe_u32 v4, v3, 16, 1
	v_mul_f32_e32 v2, s3, v2
	s_mul_i32 s0, s0, s6
	v_cndmask_b32_e32 v10, v5, v10, vcc
	v_add3_u32 v4, v4, v3, s2
	v_or_b32_e32 v5, 0x400000, v3
	v_cmp_u_f32_e32 vcc, v3, v3
	v_bfe_u32 v3, v2, 16, 1
	s_lshl_b64 s[0:1], s[0:1], 1
	v_cndmask_b32_e32 v11, v4, v5, vcc
	v_add3_u32 v3, v3, v2, s2
	v_or_b32_e32 v4, 0x400000, v2
	v_cmp_u_f32_e32 vcc, v2, v2
	s_add_u32 s0, s8, s0
	v_cndmask_b32_e32 v2, v3, v4, vcc
	s_mov_b32 s2, 0x7060302
	s_addc_u32 s1, s9, s1
	v_perm_b32 v5, v0, v8, s2
	v_perm_b32 v4, v7, v9, s2
	;; [unrolled: 1-line block ×4, first 2 shown]
	global_store_dwordx4 v1, v[2:5], s[0:1]
.LBB27_4:
	s_endpgm
	.section	.rodata,"a",@progbits
	.p2align	6, 0x0
	.amdhsa_kernel _Z30fast_hadamard_transform_kernelI37fast_hadamard_transform_kernel_traitsILi2ELi4E14__hip_bfloat16EEv18HadamardParamsBase
		.amdhsa_group_segment_fixed_size 0
		.amdhsa_private_segment_fixed_size 0
		.amdhsa_kernarg_size 56
		.amdhsa_user_sgpr_count 6
		.amdhsa_user_sgpr_private_segment_buffer 1
		.amdhsa_user_sgpr_dispatch_ptr 0
		.amdhsa_user_sgpr_queue_ptr 0
		.amdhsa_user_sgpr_kernarg_segment_ptr 1
		.amdhsa_user_sgpr_dispatch_id 0
		.amdhsa_user_sgpr_flat_scratch_init 0
		.amdhsa_user_sgpr_private_segment_size 0
		.amdhsa_uses_dynamic_stack 0
		.amdhsa_system_sgpr_private_segment_wavefront_offset 0
		.amdhsa_system_sgpr_workgroup_id_x 1
		.amdhsa_system_sgpr_workgroup_id_y 0
		.amdhsa_system_sgpr_workgroup_id_z 0
		.amdhsa_system_sgpr_workgroup_info 0
		.amdhsa_system_vgpr_workitem_id 0
		.amdhsa_next_free_vgpr 18
		.amdhsa_next_free_sgpr 12
		.amdhsa_reserve_vcc 1
		.amdhsa_reserve_flat_scratch 0
		.amdhsa_float_round_mode_32 0
		.amdhsa_float_round_mode_16_64 0
		.amdhsa_float_denorm_mode_32 3
		.amdhsa_float_denorm_mode_16_64 3
		.amdhsa_dx10_clamp 1
		.amdhsa_ieee_mode 1
		.amdhsa_fp16_overflow 0
		.amdhsa_exception_fp_ieee_invalid_op 0
		.amdhsa_exception_fp_denorm_src 0
		.amdhsa_exception_fp_ieee_div_zero 0
		.amdhsa_exception_fp_ieee_overflow 0
		.amdhsa_exception_fp_ieee_underflow 0
		.amdhsa_exception_fp_ieee_inexact 0
		.amdhsa_exception_int_div_zero 0
	.end_amdhsa_kernel
	.section	.text._Z30fast_hadamard_transform_kernelI37fast_hadamard_transform_kernel_traitsILi2ELi4E14__hip_bfloat16EEv18HadamardParamsBase,"axG",@progbits,_Z30fast_hadamard_transform_kernelI37fast_hadamard_transform_kernel_traitsILi2ELi4E14__hip_bfloat16EEv18HadamardParamsBase,comdat
.Lfunc_end27:
	.size	_Z30fast_hadamard_transform_kernelI37fast_hadamard_transform_kernel_traitsILi2ELi4E14__hip_bfloat16EEv18HadamardParamsBase, .Lfunc_end27-_Z30fast_hadamard_transform_kernelI37fast_hadamard_transform_kernel_traitsILi2ELi4E14__hip_bfloat16EEv18HadamardParamsBase
                                        ; -- End function
	.set _Z30fast_hadamard_transform_kernelI37fast_hadamard_transform_kernel_traitsILi2ELi4E14__hip_bfloat16EEv18HadamardParamsBase.num_vgpr, 18
	.set _Z30fast_hadamard_transform_kernelI37fast_hadamard_transform_kernel_traitsILi2ELi4E14__hip_bfloat16EEv18HadamardParamsBase.num_agpr, 0
	.set _Z30fast_hadamard_transform_kernelI37fast_hadamard_transform_kernel_traitsILi2ELi4E14__hip_bfloat16EEv18HadamardParamsBase.numbered_sgpr, 12
	.set _Z30fast_hadamard_transform_kernelI37fast_hadamard_transform_kernel_traitsILi2ELi4E14__hip_bfloat16EEv18HadamardParamsBase.num_named_barrier, 0
	.set _Z30fast_hadamard_transform_kernelI37fast_hadamard_transform_kernel_traitsILi2ELi4E14__hip_bfloat16EEv18HadamardParamsBase.private_seg_size, 0
	.set _Z30fast_hadamard_transform_kernelI37fast_hadamard_transform_kernel_traitsILi2ELi4E14__hip_bfloat16EEv18HadamardParamsBase.uses_vcc, 1
	.set _Z30fast_hadamard_transform_kernelI37fast_hadamard_transform_kernel_traitsILi2ELi4E14__hip_bfloat16EEv18HadamardParamsBase.uses_flat_scratch, 0
	.set _Z30fast_hadamard_transform_kernelI37fast_hadamard_transform_kernel_traitsILi2ELi4E14__hip_bfloat16EEv18HadamardParamsBase.has_dyn_sized_stack, 0
	.set _Z30fast_hadamard_transform_kernelI37fast_hadamard_transform_kernel_traitsILi2ELi4E14__hip_bfloat16EEv18HadamardParamsBase.has_recursion, 0
	.set _Z30fast_hadamard_transform_kernelI37fast_hadamard_transform_kernel_traitsILi2ELi4E14__hip_bfloat16EEv18HadamardParamsBase.has_indirect_call, 0
	.section	.AMDGPU.csdata,"",@progbits
; Kernel info:
; codeLenInByte = 912
; TotalNumSgprs: 16
; NumVgprs: 18
; ScratchSize: 0
; MemoryBound: 0
; FloatMode: 240
; IeeeMode: 1
; LDSByteSize: 0 bytes/workgroup (compile time only)
; SGPRBlocks: 1
; VGPRBlocks: 4
; NumSGPRsForWavesPerEU: 16
; NumVGPRsForWavesPerEU: 18
; Occupancy: 10
; WaveLimiterHint : 0
; COMPUTE_PGM_RSRC2:SCRATCH_EN: 0
; COMPUTE_PGM_RSRC2:USER_SGPR: 6
; COMPUTE_PGM_RSRC2:TRAP_HANDLER: 0
; COMPUTE_PGM_RSRC2:TGID_X_EN: 1
; COMPUTE_PGM_RSRC2:TGID_Y_EN: 0
; COMPUTE_PGM_RSRC2:TGID_Z_EN: 0
; COMPUTE_PGM_RSRC2:TIDIG_COMP_CNT: 0
	.section	.text._Z30fast_hadamard_transform_kernelI37fast_hadamard_transform_kernel_traitsILi4ELi5E14__hip_bfloat16EEv18HadamardParamsBase,"axG",@progbits,_Z30fast_hadamard_transform_kernelI37fast_hadamard_transform_kernel_traitsILi4ELi5E14__hip_bfloat16EEv18HadamardParamsBase,comdat
	.protected	_Z30fast_hadamard_transform_kernelI37fast_hadamard_transform_kernel_traitsILi4ELi5E14__hip_bfloat16EEv18HadamardParamsBase ; -- Begin function _Z30fast_hadamard_transform_kernelI37fast_hadamard_transform_kernel_traitsILi4ELi5E14__hip_bfloat16EEv18HadamardParamsBase
	.globl	_Z30fast_hadamard_transform_kernelI37fast_hadamard_transform_kernel_traitsILi4ELi5E14__hip_bfloat16EEv18HadamardParamsBase
	.p2align	8
	.type	_Z30fast_hadamard_transform_kernelI37fast_hadamard_transform_kernel_traitsILi4ELi5E14__hip_bfloat16EEv18HadamardParamsBase,@function
_Z30fast_hadamard_transform_kernelI37fast_hadamard_transform_kernel_traitsILi4ELi5E14__hip_bfloat16EEv18HadamardParamsBase: ; @_Z30fast_hadamard_transform_kernelI37fast_hadamard_transform_kernel_traitsILi4ELi5E14__hip_bfloat16EEv18HadamardParamsBase
; %bb.0:
	s_load_dword s0, s[4:5], 0x4
	v_lshlrev_b32_e32 v1, 3, v0
	s_ashr_i32 s2, s6, 31
	v_mov_b32_e32 v2, 0
	v_mov_b32_e32 v3, 0
	s_waitcnt lgkmcnt(0)
	v_cmp_gt_u32_e32 vcc, s0, v1
	v_lshlrev_b32_e32 v1, 4, v0
	v_mov_b32_e32 v4, 0
	v_mov_b32_e32 v5, 0
	;; [unrolled: 1-line block ×6, first 2 shown]
	s_and_saveexec_b64 s[0:1], vcc
	s_cbranch_execz .LBB28_2
; %bb.1:
	s_load_dwordx2 s[8:9], s[4:5], 0x10
	s_load_dwordx2 s[10:11], s[4:5], 0x28
	s_waitcnt lgkmcnt(0)
	s_mul_i32 s3, s8, s2
	s_mul_hi_u32 s7, s8, s6
	s_mul_i32 s9, s9, s6
	s_add_i32 s3, s7, s3
	s_mul_i32 s8, s8, s6
	s_add_i32 s9, s3, s9
	s_lshl_b64 s[8:9], s[8:9], 1
	s_add_u32 s8, s10, s8
	s_addc_u32 s9, s11, s9
	global_load_dwordx4 v[10:13], v1, s[8:9]
	s_waitcnt vmcnt(0)
	v_lshlrev_b32_e32 v9, 16, v10
	v_and_b32_e32 v8, 0xffff0000, v10
	v_lshlrev_b32_e32 v7, 16, v11
	v_and_b32_e32 v6, 0xffff0000, v11
	;; [unrolled: 2-line block ×4, first 2 shown]
.LBB28_2:
	s_or_b64 exec, exec, s[0:1]
	v_add_f32_e32 v10, v8, v9
	v_sub_f32_e32 v8, v9, v8
	v_add_f32_e32 v9, v6, v7
	v_sub_f32_e32 v6, v7, v6
	;; [unrolled: 2-line block ×12, first 2 shown]
	v_mbcnt_lo_u32_b32 v2, -1, 0
	v_mbcnt_hi_u32_b32 v12, -1, v2
	v_and_b32_e32 v2, 64, v12
	v_add_u32_e32 v14, 64, v2
	v_xor_b32_e32 v2, 1, v12
	v_cmp_lt_i32_e64 s[0:1], v2, v14
	v_cndmask_b32_e64 v2, v12, v2, s[0:1]
	v_lshlrev_b32_e32 v13, 2, v2
	ds_bpermute_b32 v2, v13, v4
	v_and_b32_e32 v6, 1, v0
	v_cmp_eq_u32_e64 s[0:1], 0, v6
	v_cndmask_b32_e64 v4, -v4, v4, s[0:1]
	ds_bpermute_b32 v6, v13, v5
	s_waitcnt lgkmcnt(1)
	v_add_f32_e32 v2, v4, v2
	ds_bpermute_b32 v4, v13, v10
	v_cndmask_b32_e64 v10, -v10, v10, s[0:1]
	v_cndmask_b32_e64 v5, -v5, v5, s[0:1]
	s_waitcnt lgkmcnt(1)
	v_add_f32_e32 v5, v5, v6
	v_cndmask_b32_e64 v6, -v8, v8, s[0:1]
	s_waitcnt lgkmcnt(0)
	v_add_f32_e32 v4, v10, v4
	ds_bpermute_b32 v10, v13, v8
	ds_bpermute_b32 v8, v13, v7
	;; [unrolled: 1-line block ×3, first 2 shown]
	v_cndmask_b32_e64 v7, -v7, v7, s[0:1]
	v_cndmask_b32_e64 v3, -v3, v3, s[0:1]
	s_waitcnt lgkmcnt(2)
	v_add_f32_e32 v6, v6, v10
	ds_bpermute_b32 v10, v13, v9
	ds_bpermute_b32 v13, v13, v11
	s_waitcnt lgkmcnt(3)
	v_add_f32_e32 v8, v7, v8
	v_cndmask_b32_e64 v7, -v9, v9, s[0:1]
	s_waitcnt lgkmcnt(2)
	v_add_f32_e32 v3, v3, v15
	s_waitcnt lgkmcnt(1)
	v_add_f32_e32 v10, v7, v10
	v_cndmask_b32_e64 v7, -v11, v11, s[0:1]
	s_waitcnt lgkmcnt(0)
	v_add_f32_e32 v13, v7, v13
	v_xor_b32_e32 v7, 2, v12
	v_cmp_lt_i32_e64 s[0:1], v7, v14
	v_cndmask_b32_e64 v7, v12, v7, s[0:1]
	v_lshlrev_b32_e32 v17, 2, v7
	ds_bpermute_b32 v7, v17, v2
	ds_bpermute_b32 v9, v17, v3
	;; [unrolled: 1-line block ×8, first 2 shown]
	s_and_saveexec_b64 s[0:1], vcc
	s_cbranch_execz .LBB28_4
; %bb.3:
	s_load_dwordx2 s[0:1], s[4:5], 0x18
	s_load_dwordx2 s[8:9], s[4:5], 0x30
	s_load_dword s3, s[4:5], 0x20
	v_and_b32_e32 v0, 2, v0
	v_cmp_eq_u32_e32 vcc, 0, v0
	v_cndmask_b32_e64 v0, -v13, v13, vcc
	s_waitcnt lgkmcnt(0)
	s_mul_i32 s2, s0, s2
	s_mul_hi_u32 s4, s0, s6
	v_add_f32_e32 v0, v0, v17
	s_mul_i32 s1, s1, s6
	s_add_i32 s2, s4, s2
	v_cndmask_b32_e64 v2, -v2, v2, vcc
	v_mul_f32_e32 v0, s3, v0
	s_add_i32 s1, s2, s1
	v_cndmask_b32_e64 v10, -v10, v10, vcc
	v_cndmask_b32_e64 v3, -v3, v3, vcc
	v_add_f32_e32 v2, v2, v7
	v_bfe_u32 v7, v0, 16, 1
	s_movk_i32 s2, 0x7fff
	v_add_f32_e32 v10, v10, v16
	v_cndmask_b32_e64 v8, -v8, v8, vcc
	v_cndmask_b32_e64 v6, -v6, v6, vcc
	;; [unrolled: 1-line block ×4, first 2 shown]
	v_add_f32_e32 v3, v3, v9
	v_add3_u32 v7, v7, v0, s2
	v_or_b32_e32 v9, 0x400000, v0
	v_cmp_u_f32_e32 vcc, v0, v0
	v_cndmask_b32_e32 v0, v7, v9, vcc
	v_mul_f32_e32 v7, s3, v10
	v_add_f32_e32 v8, v8, v15
	v_bfe_u32 v9, v7, 16, 1
	v_add3_u32 v9, v9, v7, s2
	v_or_b32_e32 v10, 0x400000, v7
	v_cmp_u_f32_e32 vcc, v7, v7
	v_mul_f32_e32 v8, s3, v8
	v_add_f32_e32 v6, v6, v14
	v_cndmask_b32_e32 v7, v9, v10, vcc
	v_bfe_u32 v9, v8, 16, 1
	v_add3_u32 v9, v9, v8, s2
	v_or_b32_e32 v10, 0x400000, v8
	v_cmp_u_f32_e32 vcc, v8, v8
	v_mul_f32_e32 v6, s3, v6
	v_add_f32_e32 v5, v5, v12
	v_cndmask_b32_e32 v8, v9, v10, vcc
	v_bfe_u32 v9, v6, 16, 1
	v_add_f32_e32 v4, v4, v11
	v_add3_u32 v9, v9, v6, s2
	v_or_b32_e32 v10, 0x400000, v6
	v_cmp_u_f32_e32 vcc, v6, v6
	v_mul_f32_e32 v5, s3, v5
	v_cndmask_b32_e32 v6, v9, v10, vcc
	v_bfe_u32 v9, v5, 16, 1
	v_mul_f32_e32 v4, s3, v4
	v_add3_u32 v9, v9, v5, s2
	v_or_b32_e32 v10, 0x400000, v5
	v_cmp_u_f32_e32 vcc, v5, v5
	v_bfe_u32 v5, v4, 16, 1
	v_mul_f32_e32 v3, s3, v3
	v_cndmask_b32_e32 v9, v9, v10, vcc
	v_add3_u32 v5, v5, v4, s2
	v_or_b32_e32 v10, 0x400000, v4
	v_cmp_u_f32_e32 vcc, v4, v4
	v_bfe_u32 v4, v3, 16, 1
	v_mul_f32_e32 v2, s3, v2
	s_mul_i32 s0, s0, s6
	v_cndmask_b32_e32 v10, v5, v10, vcc
	v_add3_u32 v4, v4, v3, s2
	v_or_b32_e32 v5, 0x400000, v3
	v_cmp_u_f32_e32 vcc, v3, v3
	v_bfe_u32 v3, v2, 16, 1
	s_lshl_b64 s[0:1], s[0:1], 1
	v_cndmask_b32_e32 v11, v4, v5, vcc
	v_add3_u32 v3, v3, v2, s2
	v_or_b32_e32 v4, 0x400000, v2
	v_cmp_u_f32_e32 vcc, v2, v2
	s_add_u32 s0, s8, s0
	v_cndmask_b32_e32 v2, v3, v4, vcc
	s_mov_b32 s2, 0x7060302
	s_addc_u32 s1, s9, s1
	v_perm_b32 v5, v0, v7, s2
	v_perm_b32 v4, v8, v6, s2
	v_perm_b32 v3, v9, v10, s2
	v_perm_b32 v2, v11, v2, s2
	global_store_dwordx4 v1, v[2:5], s[0:1]
.LBB28_4:
	s_endpgm
	.section	.rodata,"a",@progbits
	.p2align	6, 0x0
	.amdhsa_kernel _Z30fast_hadamard_transform_kernelI37fast_hadamard_transform_kernel_traitsILi4ELi5E14__hip_bfloat16EEv18HadamardParamsBase
		.amdhsa_group_segment_fixed_size 0
		.amdhsa_private_segment_fixed_size 0
		.amdhsa_kernarg_size 56
		.amdhsa_user_sgpr_count 6
		.amdhsa_user_sgpr_private_segment_buffer 1
		.amdhsa_user_sgpr_dispatch_ptr 0
		.amdhsa_user_sgpr_queue_ptr 0
		.amdhsa_user_sgpr_kernarg_segment_ptr 1
		.amdhsa_user_sgpr_dispatch_id 0
		.amdhsa_user_sgpr_flat_scratch_init 0
		.amdhsa_user_sgpr_private_segment_size 0
		.amdhsa_uses_dynamic_stack 0
		.amdhsa_system_sgpr_private_segment_wavefront_offset 0
		.amdhsa_system_sgpr_workgroup_id_x 1
		.amdhsa_system_sgpr_workgroup_id_y 0
		.amdhsa_system_sgpr_workgroup_id_z 0
		.amdhsa_system_sgpr_workgroup_info 0
		.amdhsa_system_vgpr_workitem_id 0
		.amdhsa_next_free_vgpr 18
		.amdhsa_next_free_sgpr 12
		.amdhsa_reserve_vcc 1
		.amdhsa_reserve_flat_scratch 0
		.amdhsa_float_round_mode_32 0
		.amdhsa_float_round_mode_16_64 0
		.amdhsa_float_denorm_mode_32 3
		.amdhsa_float_denorm_mode_16_64 3
		.amdhsa_dx10_clamp 1
		.amdhsa_ieee_mode 1
		.amdhsa_fp16_overflow 0
		.amdhsa_exception_fp_ieee_invalid_op 0
		.amdhsa_exception_fp_denorm_src 0
		.amdhsa_exception_fp_ieee_div_zero 0
		.amdhsa_exception_fp_ieee_overflow 0
		.amdhsa_exception_fp_ieee_underflow 0
		.amdhsa_exception_fp_ieee_inexact 0
		.amdhsa_exception_int_div_zero 0
	.end_amdhsa_kernel
	.section	.text._Z30fast_hadamard_transform_kernelI37fast_hadamard_transform_kernel_traitsILi4ELi5E14__hip_bfloat16EEv18HadamardParamsBase,"axG",@progbits,_Z30fast_hadamard_transform_kernelI37fast_hadamard_transform_kernel_traitsILi4ELi5E14__hip_bfloat16EEv18HadamardParamsBase,comdat
.Lfunc_end28:
	.size	_Z30fast_hadamard_transform_kernelI37fast_hadamard_transform_kernel_traitsILi4ELi5E14__hip_bfloat16EEv18HadamardParamsBase, .Lfunc_end28-_Z30fast_hadamard_transform_kernelI37fast_hadamard_transform_kernel_traitsILi4ELi5E14__hip_bfloat16EEv18HadamardParamsBase
                                        ; -- End function
	.set _Z30fast_hadamard_transform_kernelI37fast_hadamard_transform_kernel_traitsILi4ELi5E14__hip_bfloat16EEv18HadamardParamsBase.num_vgpr, 18
	.set _Z30fast_hadamard_transform_kernelI37fast_hadamard_transform_kernel_traitsILi4ELi5E14__hip_bfloat16EEv18HadamardParamsBase.num_agpr, 0
	.set _Z30fast_hadamard_transform_kernelI37fast_hadamard_transform_kernel_traitsILi4ELi5E14__hip_bfloat16EEv18HadamardParamsBase.numbered_sgpr, 12
	.set _Z30fast_hadamard_transform_kernelI37fast_hadamard_transform_kernel_traitsILi4ELi5E14__hip_bfloat16EEv18HadamardParamsBase.num_named_barrier, 0
	.set _Z30fast_hadamard_transform_kernelI37fast_hadamard_transform_kernel_traitsILi4ELi5E14__hip_bfloat16EEv18HadamardParamsBase.private_seg_size, 0
	.set _Z30fast_hadamard_transform_kernelI37fast_hadamard_transform_kernel_traitsILi4ELi5E14__hip_bfloat16EEv18HadamardParamsBase.uses_vcc, 1
	.set _Z30fast_hadamard_transform_kernelI37fast_hadamard_transform_kernel_traitsILi4ELi5E14__hip_bfloat16EEv18HadamardParamsBase.uses_flat_scratch, 0
	.set _Z30fast_hadamard_transform_kernelI37fast_hadamard_transform_kernel_traitsILi4ELi5E14__hip_bfloat16EEv18HadamardParamsBase.has_dyn_sized_stack, 0
	.set _Z30fast_hadamard_transform_kernelI37fast_hadamard_transform_kernel_traitsILi4ELi5E14__hip_bfloat16EEv18HadamardParamsBase.has_recursion, 0
	.set _Z30fast_hadamard_transform_kernelI37fast_hadamard_transform_kernel_traitsILi4ELi5E14__hip_bfloat16EEv18HadamardParamsBase.has_indirect_call, 0
	.section	.AMDGPU.csdata,"",@progbits
; Kernel info:
; codeLenInByte = 1144
; TotalNumSgprs: 16
; NumVgprs: 18
; ScratchSize: 0
; MemoryBound: 0
; FloatMode: 240
; IeeeMode: 1
; LDSByteSize: 0 bytes/workgroup (compile time only)
; SGPRBlocks: 1
; VGPRBlocks: 4
; NumSGPRsForWavesPerEU: 16
; NumVGPRsForWavesPerEU: 18
; Occupancy: 10
; WaveLimiterHint : 0
; COMPUTE_PGM_RSRC2:SCRATCH_EN: 0
; COMPUTE_PGM_RSRC2:USER_SGPR: 6
; COMPUTE_PGM_RSRC2:TRAP_HANDLER: 0
; COMPUTE_PGM_RSRC2:TGID_X_EN: 1
; COMPUTE_PGM_RSRC2:TGID_Y_EN: 0
; COMPUTE_PGM_RSRC2:TGID_Z_EN: 0
; COMPUTE_PGM_RSRC2:TIDIG_COMP_CNT: 0
	.section	.text._Z30fast_hadamard_transform_kernelI37fast_hadamard_transform_kernel_traitsILi8ELi6E14__hip_bfloat16EEv18HadamardParamsBase,"axG",@progbits,_Z30fast_hadamard_transform_kernelI37fast_hadamard_transform_kernel_traitsILi8ELi6E14__hip_bfloat16EEv18HadamardParamsBase,comdat
	.protected	_Z30fast_hadamard_transform_kernelI37fast_hadamard_transform_kernel_traitsILi8ELi6E14__hip_bfloat16EEv18HadamardParamsBase ; -- Begin function _Z30fast_hadamard_transform_kernelI37fast_hadamard_transform_kernel_traitsILi8ELi6E14__hip_bfloat16EEv18HadamardParamsBase
	.globl	_Z30fast_hadamard_transform_kernelI37fast_hadamard_transform_kernel_traitsILi8ELi6E14__hip_bfloat16EEv18HadamardParamsBase
	.p2align	8
	.type	_Z30fast_hadamard_transform_kernelI37fast_hadamard_transform_kernel_traitsILi8ELi6E14__hip_bfloat16EEv18HadamardParamsBase,@function
_Z30fast_hadamard_transform_kernelI37fast_hadamard_transform_kernel_traitsILi8ELi6E14__hip_bfloat16EEv18HadamardParamsBase: ; @_Z30fast_hadamard_transform_kernelI37fast_hadamard_transform_kernel_traitsILi8ELi6E14__hip_bfloat16EEv18HadamardParamsBase
; %bb.0:
	s_load_dword s0, s[4:5], 0x4
	v_lshlrev_b32_e32 v1, 3, v0
	s_ashr_i32 s2, s6, 31
	v_mov_b32_e32 v2, 0
	v_mov_b32_e32 v3, 0
	s_waitcnt lgkmcnt(0)
	v_cmp_gt_u32_e32 vcc, s0, v1
	v_lshlrev_b32_e32 v1, 4, v0
	v_mov_b32_e32 v4, 0
	v_mov_b32_e32 v5, 0
	;; [unrolled: 1-line block ×6, first 2 shown]
	s_and_saveexec_b64 s[0:1], vcc
	s_cbranch_execz .LBB29_2
; %bb.1:
	s_load_dwordx2 s[8:9], s[4:5], 0x10
	s_load_dwordx2 s[10:11], s[4:5], 0x28
	s_waitcnt lgkmcnt(0)
	s_mul_i32 s3, s8, s2
	s_mul_hi_u32 s7, s8, s6
	s_mul_i32 s9, s9, s6
	s_add_i32 s3, s7, s3
	s_mul_i32 s8, s8, s6
	s_add_i32 s9, s3, s9
	s_lshl_b64 s[8:9], s[8:9], 1
	s_add_u32 s8, s10, s8
	s_addc_u32 s9, s11, s9
	global_load_dwordx4 v[10:13], v1, s[8:9]
	s_waitcnt vmcnt(0)
	v_lshlrev_b32_e32 v9, 16, v10
	v_and_b32_e32 v8, 0xffff0000, v10
	v_lshlrev_b32_e32 v7, 16, v11
	v_and_b32_e32 v6, 0xffff0000, v11
	;; [unrolled: 2-line block ×4, first 2 shown]
.LBB29_2:
	s_or_b64 exec, exec, s[0:1]
	v_add_f32_e32 v10, v8, v9
	v_sub_f32_e32 v8, v9, v8
	v_add_f32_e32 v9, v6, v7
	v_sub_f32_e32 v6, v7, v6
	;; [unrolled: 2-line block ×12, first 2 shown]
	v_mbcnt_lo_u32_b32 v6, -1, 0
	v_mbcnt_hi_u32_b32 v11, -1, v6
	v_and_b32_e32 v6, 64, v11
	v_add_u32_e32 v12, 64, v6
	v_xor_b32_e32 v6, 1, v11
	v_cmp_lt_i32_e64 s[0:1], v6, v12
	v_cndmask_b32_e64 v6, v11, v6, s[0:1]
	v_lshlrev_b32_e32 v6, 2, v6
	ds_bpermute_b32 v13, v6, v4
	v_and_b32_e32 v14, 1, v0
	v_cmp_eq_u32_e64 s[0:1], 0, v14
	v_cndmask_b32_e64 v4, -v4, v4, s[0:1]
	ds_bpermute_b32 v14, v6, v9
	s_waitcnt lgkmcnt(1)
	v_add_f32_e32 v4, v4, v13
	ds_bpermute_b32 v13, v6, v10
	v_cndmask_b32_e64 v10, -v10, v10, s[0:1]
	v_cndmask_b32_e64 v9, -v9, v9, s[0:1]
	ds_bpermute_b32 v15, v6, v8
	s_waitcnt lgkmcnt(2)
	v_add_f32_e32 v9, v9, v14
	s_waitcnt lgkmcnt(1)
	v_add_f32_e32 v10, v10, v13
	ds_bpermute_b32 v13, v6, v3
	v_cndmask_b32_e64 v3, -v3, v3, s[0:1]
	ds_bpermute_b32 v14, v6, v7
	v_cndmask_b32_e64 v8, -v8, v8, s[0:1]
	s_waitcnt lgkmcnt(2)
	v_add_f32_e32 v8, v8, v15
	s_waitcnt lgkmcnt(1)
	v_add_f32_e32 v13, v3, v13
	ds_bpermute_b32 v3, v6, v5
	ds_bpermute_b32 v6, v6, v2
	v_cndmask_b32_e64 v2, -v2, v2, s[0:1]
	v_cndmask_b32_e64 v7, -v7, v7, s[0:1]
	;; [unrolled: 1-line block ×3, first 2 shown]
	s_waitcnt lgkmcnt(2)
	v_add_f32_e32 v7, v7, v14
	s_waitcnt lgkmcnt(0)
	v_add_f32_e32 v15, v2, v6
	v_xor_b32_e32 v2, 2, v11
	v_cmp_lt_i32_e64 s[0:1], v2, v12
	v_cndmask_b32_e64 v2, v11, v2, s[0:1]
	v_lshlrev_b32_e32 v16, 2, v2
	ds_bpermute_b32 v2, v16, v4
	v_add_f32_e32 v14, v5, v3
	ds_bpermute_b32 v5, v16, v8
	v_and_b32_e32 v3, 2, v0
	v_cmp_eq_u32_e64 s[0:1], 0, v3
	v_cndmask_b32_e64 v3, -v4, v4, s[0:1]
	ds_bpermute_b32 v4, v16, v10
	s_waitcnt lgkmcnt(2)
	v_add_f32_e32 v2, v3, v2
	v_cndmask_b32_e64 v3, -v8, v8, s[0:1]
	s_waitcnt lgkmcnt(1)
	v_add_f32_e32 v3, v3, v5
	ds_bpermute_b32 v5, v16, v9
	v_cndmask_b32_e64 v6, -v10, v10, s[0:1]
	s_waitcnt lgkmcnt(1)
	v_add_f32_e32 v4, v6, v4
	ds_bpermute_b32 v6, v16, v13
	v_cndmask_b32_e64 v8, -v9, v9, s[0:1]
	ds_bpermute_b32 v9, v16, v7
	ds_bpermute_b32 v10, v16, v14
	s_waitcnt lgkmcnt(3)
	v_add_f32_e32 v5, v8, v5
	v_cndmask_b32_e64 v8, -v13, v13, s[0:1]
	ds_bpermute_b32 v13, v16, v15
	v_cndmask_b32_e64 v7, -v7, v7, s[0:1]
	s_waitcnt lgkmcnt(3)
	v_add_f32_e32 v6, v8, v6
	s_waitcnt lgkmcnt(2)
	v_add_f32_e32 v8, v7, v9
	v_cndmask_b32_e64 v7, -v14, v14, s[0:1]
	s_waitcnt lgkmcnt(1)
	v_add_f32_e32 v10, v7, v10
	v_cndmask_b32_e64 v7, -v15, v15, s[0:1]
	s_waitcnt lgkmcnt(0)
	v_add_f32_e32 v13, v7, v13
	v_xor_b32_e32 v7, 4, v11
	v_cmp_lt_i32_e64 s[0:1], v7, v12
	v_cndmask_b32_e64 v7, v11, v7, s[0:1]
	v_lshlrev_b32_e32 v17, 2, v7
	ds_bpermute_b32 v7, v17, v2
	ds_bpermute_b32 v9, v17, v3
	;; [unrolled: 1-line block ×8, first 2 shown]
	s_and_saveexec_b64 s[0:1], vcc
	s_cbranch_execz .LBB29_4
; %bb.3:
	s_load_dwordx2 s[0:1], s[4:5], 0x18
	s_load_dwordx2 s[8:9], s[4:5], 0x30
	s_load_dword s3, s[4:5], 0x20
	v_and_b32_e32 v0, 4, v0
	v_cmp_eq_u32_e32 vcc, 0, v0
	v_cndmask_b32_e64 v0, -v13, v13, vcc
	s_waitcnt lgkmcnt(0)
	s_mul_i32 s2, s0, s2
	s_mul_hi_u32 s4, s0, s6
	v_add_f32_e32 v0, v0, v17
	s_mul_i32 s1, s1, s6
	s_add_i32 s2, s4, s2
	v_cndmask_b32_e64 v2, -v2, v2, vcc
	v_mul_f32_e32 v0, s3, v0
	s_add_i32 s1, s2, s1
	v_cndmask_b32_e64 v10, -v10, v10, vcc
	v_cndmask_b32_e64 v3, -v3, v3, vcc
	v_add_f32_e32 v2, v2, v7
	v_bfe_u32 v7, v0, 16, 1
	s_movk_i32 s2, 0x7fff
	v_add_f32_e32 v10, v10, v16
	v_cndmask_b32_e64 v8, -v8, v8, vcc
	v_cndmask_b32_e64 v6, -v6, v6, vcc
	;; [unrolled: 1-line block ×4, first 2 shown]
	v_add_f32_e32 v3, v3, v9
	v_add3_u32 v7, v7, v0, s2
	v_or_b32_e32 v9, 0x400000, v0
	v_cmp_u_f32_e32 vcc, v0, v0
	v_cndmask_b32_e32 v0, v7, v9, vcc
	v_mul_f32_e32 v7, s3, v10
	v_add_f32_e32 v8, v8, v15
	v_bfe_u32 v9, v7, 16, 1
	v_add3_u32 v9, v9, v7, s2
	v_or_b32_e32 v10, 0x400000, v7
	v_cmp_u_f32_e32 vcc, v7, v7
	v_mul_f32_e32 v8, s3, v8
	v_add_f32_e32 v6, v6, v14
	v_cndmask_b32_e32 v7, v9, v10, vcc
	v_bfe_u32 v9, v8, 16, 1
	v_add3_u32 v9, v9, v8, s2
	v_or_b32_e32 v10, 0x400000, v8
	v_cmp_u_f32_e32 vcc, v8, v8
	v_mul_f32_e32 v6, s3, v6
	v_add_f32_e32 v5, v5, v12
	v_cndmask_b32_e32 v8, v9, v10, vcc
	v_bfe_u32 v9, v6, 16, 1
	v_add_f32_e32 v4, v4, v11
	v_add3_u32 v9, v9, v6, s2
	v_or_b32_e32 v10, 0x400000, v6
	v_cmp_u_f32_e32 vcc, v6, v6
	v_mul_f32_e32 v5, s3, v5
	v_cndmask_b32_e32 v6, v9, v10, vcc
	v_bfe_u32 v9, v5, 16, 1
	v_mul_f32_e32 v4, s3, v4
	v_add3_u32 v9, v9, v5, s2
	v_or_b32_e32 v10, 0x400000, v5
	v_cmp_u_f32_e32 vcc, v5, v5
	v_bfe_u32 v5, v4, 16, 1
	v_mul_f32_e32 v3, s3, v3
	v_cndmask_b32_e32 v9, v9, v10, vcc
	v_add3_u32 v5, v5, v4, s2
	v_or_b32_e32 v10, 0x400000, v4
	v_cmp_u_f32_e32 vcc, v4, v4
	v_bfe_u32 v4, v3, 16, 1
	v_mul_f32_e32 v2, s3, v2
	s_mul_i32 s0, s0, s6
	v_cndmask_b32_e32 v10, v5, v10, vcc
	v_add3_u32 v4, v4, v3, s2
	v_or_b32_e32 v5, 0x400000, v3
	v_cmp_u_f32_e32 vcc, v3, v3
	v_bfe_u32 v3, v2, 16, 1
	s_lshl_b64 s[0:1], s[0:1], 1
	v_cndmask_b32_e32 v11, v4, v5, vcc
	v_add3_u32 v3, v3, v2, s2
	v_or_b32_e32 v4, 0x400000, v2
	v_cmp_u_f32_e32 vcc, v2, v2
	s_add_u32 s0, s8, s0
	v_cndmask_b32_e32 v2, v3, v4, vcc
	s_mov_b32 s2, 0x7060302
	s_addc_u32 s1, s9, s1
	v_perm_b32 v5, v0, v7, s2
	v_perm_b32 v4, v8, v6, s2
	;; [unrolled: 1-line block ×4, first 2 shown]
	global_store_dwordx4 v1, v[2:5], s[0:1]
.LBB29_4:
	s_endpgm
	.section	.rodata,"a",@progbits
	.p2align	6, 0x0
	.amdhsa_kernel _Z30fast_hadamard_transform_kernelI37fast_hadamard_transform_kernel_traitsILi8ELi6E14__hip_bfloat16EEv18HadamardParamsBase
		.amdhsa_group_segment_fixed_size 0
		.amdhsa_private_segment_fixed_size 0
		.amdhsa_kernarg_size 56
		.amdhsa_user_sgpr_count 6
		.amdhsa_user_sgpr_private_segment_buffer 1
		.amdhsa_user_sgpr_dispatch_ptr 0
		.amdhsa_user_sgpr_queue_ptr 0
		.amdhsa_user_sgpr_kernarg_segment_ptr 1
		.amdhsa_user_sgpr_dispatch_id 0
		.amdhsa_user_sgpr_flat_scratch_init 0
		.amdhsa_user_sgpr_private_segment_size 0
		.amdhsa_uses_dynamic_stack 0
		.amdhsa_system_sgpr_private_segment_wavefront_offset 0
		.amdhsa_system_sgpr_workgroup_id_x 1
		.amdhsa_system_sgpr_workgroup_id_y 0
		.amdhsa_system_sgpr_workgroup_id_z 0
		.amdhsa_system_sgpr_workgroup_info 0
		.amdhsa_system_vgpr_workitem_id 0
		.amdhsa_next_free_vgpr 18
		.amdhsa_next_free_sgpr 12
		.amdhsa_reserve_vcc 1
		.amdhsa_reserve_flat_scratch 0
		.amdhsa_float_round_mode_32 0
		.amdhsa_float_round_mode_16_64 0
		.amdhsa_float_denorm_mode_32 3
		.amdhsa_float_denorm_mode_16_64 3
		.amdhsa_dx10_clamp 1
		.amdhsa_ieee_mode 1
		.amdhsa_fp16_overflow 0
		.amdhsa_exception_fp_ieee_invalid_op 0
		.amdhsa_exception_fp_denorm_src 0
		.amdhsa_exception_fp_ieee_div_zero 0
		.amdhsa_exception_fp_ieee_overflow 0
		.amdhsa_exception_fp_ieee_underflow 0
		.amdhsa_exception_fp_ieee_inexact 0
		.amdhsa_exception_int_div_zero 0
	.end_amdhsa_kernel
	.section	.text._Z30fast_hadamard_transform_kernelI37fast_hadamard_transform_kernel_traitsILi8ELi6E14__hip_bfloat16EEv18HadamardParamsBase,"axG",@progbits,_Z30fast_hadamard_transform_kernelI37fast_hadamard_transform_kernel_traitsILi8ELi6E14__hip_bfloat16EEv18HadamardParamsBase,comdat
.Lfunc_end29:
	.size	_Z30fast_hadamard_transform_kernelI37fast_hadamard_transform_kernel_traitsILi8ELi6E14__hip_bfloat16EEv18HadamardParamsBase, .Lfunc_end29-_Z30fast_hadamard_transform_kernelI37fast_hadamard_transform_kernel_traitsILi8ELi6E14__hip_bfloat16EEv18HadamardParamsBase
                                        ; -- End function
	.set _Z30fast_hadamard_transform_kernelI37fast_hadamard_transform_kernel_traitsILi8ELi6E14__hip_bfloat16EEv18HadamardParamsBase.num_vgpr, 18
	.set _Z30fast_hadamard_transform_kernelI37fast_hadamard_transform_kernel_traitsILi8ELi6E14__hip_bfloat16EEv18HadamardParamsBase.num_agpr, 0
	.set _Z30fast_hadamard_transform_kernelI37fast_hadamard_transform_kernel_traitsILi8ELi6E14__hip_bfloat16EEv18HadamardParamsBase.numbered_sgpr, 12
	.set _Z30fast_hadamard_transform_kernelI37fast_hadamard_transform_kernel_traitsILi8ELi6E14__hip_bfloat16EEv18HadamardParamsBase.num_named_barrier, 0
	.set _Z30fast_hadamard_transform_kernelI37fast_hadamard_transform_kernel_traitsILi8ELi6E14__hip_bfloat16EEv18HadamardParamsBase.private_seg_size, 0
	.set _Z30fast_hadamard_transform_kernelI37fast_hadamard_transform_kernel_traitsILi8ELi6E14__hip_bfloat16EEv18HadamardParamsBase.uses_vcc, 1
	.set _Z30fast_hadamard_transform_kernelI37fast_hadamard_transform_kernel_traitsILi8ELi6E14__hip_bfloat16EEv18HadamardParamsBase.uses_flat_scratch, 0
	.set _Z30fast_hadamard_transform_kernelI37fast_hadamard_transform_kernel_traitsILi8ELi6E14__hip_bfloat16EEv18HadamardParamsBase.has_dyn_sized_stack, 0
	.set _Z30fast_hadamard_transform_kernelI37fast_hadamard_transform_kernel_traitsILi8ELi6E14__hip_bfloat16EEv18HadamardParamsBase.has_recursion, 0
	.set _Z30fast_hadamard_transform_kernelI37fast_hadamard_transform_kernel_traitsILi8ELi6E14__hip_bfloat16EEv18HadamardParamsBase.has_indirect_call, 0
	.section	.AMDGPU.csdata,"",@progbits
; Kernel info:
; codeLenInByte = 1368
; TotalNumSgprs: 16
; NumVgprs: 18
; ScratchSize: 0
; MemoryBound: 0
; FloatMode: 240
; IeeeMode: 1
; LDSByteSize: 0 bytes/workgroup (compile time only)
; SGPRBlocks: 1
; VGPRBlocks: 4
; NumSGPRsForWavesPerEU: 16
; NumVGPRsForWavesPerEU: 18
; Occupancy: 10
; WaveLimiterHint : 0
; COMPUTE_PGM_RSRC2:SCRATCH_EN: 0
; COMPUTE_PGM_RSRC2:USER_SGPR: 6
; COMPUTE_PGM_RSRC2:TRAP_HANDLER: 0
; COMPUTE_PGM_RSRC2:TGID_X_EN: 1
; COMPUTE_PGM_RSRC2:TGID_Y_EN: 0
; COMPUTE_PGM_RSRC2:TGID_Z_EN: 0
; COMPUTE_PGM_RSRC2:TIDIG_COMP_CNT: 0
	.section	.text._Z30fast_hadamard_transform_kernelI37fast_hadamard_transform_kernel_traitsILi16ELi7E14__hip_bfloat16EEv18HadamardParamsBase,"axG",@progbits,_Z30fast_hadamard_transform_kernelI37fast_hadamard_transform_kernel_traitsILi16ELi7E14__hip_bfloat16EEv18HadamardParamsBase,comdat
	.protected	_Z30fast_hadamard_transform_kernelI37fast_hadamard_transform_kernel_traitsILi16ELi7E14__hip_bfloat16EEv18HadamardParamsBase ; -- Begin function _Z30fast_hadamard_transform_kernelI37fast_hadamard_transform_kernel_traitsILi16ELi7E14__hip_bfloat16EEv18HadamardParamsBase
	.globl	_Z30fast_hadamard_transform_kernelI37fast_hadamard_transform_kernel_traitsILi16ELi7E14__hip_bfloat16EEv18HadamardParamsBase
	.p2align	8
	.type	_Z30fast_hadamard_transform_kernelI37fast_hadamard_transform_kernel_traitsILi16ELi7E14__hip_bfloat16EEv18HadamardParamsBase,@function
_Z30fast_hadamard_transform_kernelI37fast_hadamard_transform_kernel_traitsILi16ELi7E14__hip_bfloat16EEv18HadamardParamsBase: ; @_Z30fast_hadamard_transform_kernelI37fast_hadamard_transform_kernel_traitsILi16ELi7E14__hip_bfloat16EEv18HadamardParamsBase
; %bb.0:
	s_load_dword s0, s[4:5], 0x4
	v_lshlrev_b32_e32 v1, 3, v0
	s_ashr_i32 s2, s6, 31
	v_mov_b32_e32 v2, 0
	v_mov_b32_e32 v3, 0
	s_waitcnt lgkmcnt(0)
	v_cmp_gt_u32_e32 vcc, s0, v1
	v_lshlrev_b32_e32 v1, 4, v0
	v_mov_b32_e32 v4, 0
	v_mov_b32_e32 v5, 0
	;; [unrolled: 1-line block ×6, first 2 shown]
	s_and_saveexec_b64 s[0:1], vcc
	s_cbranch_execz .LBB30_2
; %bb.1:
	s_load_dwordx2 s[8:9], s[4:5], 0x10
	s_load_dwordx2 s[10:11], s[4:5], 0x28
	s_waitcnt lgkmcnt(0)
	s_mul_i32 s3, s8, s2
	s_mul_hi_u32 s7, s8, s6
	s_mul_i32 s9, s9, s6
	s_add_i32 s3, s7, s3
	s_mul_i32 s8, s8, s6
	s_add_i32 s9, s3, s9
	s_lshl_b64 s[8:9], s[8:9], 1
	s_add_u32 s8, s10, s8
	s_addc_u32 s9, s11, s9
	global_load_dwordx4 v[10:13], v1, s[8:9]
	s_waitcnt vmcnt(0)
	v_lshlrev_b32_e32 v9, 16, v10
	v_and_b32_e32 v8, 0xffff0000, v10
	v_lshlrev_b32_e32 v7, 16, v11
	v_and_b32_e32 v6, 0xffff0000, v11
	;; [unrolled: 2-line block ×4, first 2 shown]
.LBB30_2:
	s_or_b64 exec, exec, s[0:1]
	v_add_f32_e32 v10, v8, v9
	v_sub_f32_e32 v8, v9, v8
	v_add_f32_e32 v9, v6, v7
	v_sub_f32_e32 v6, v7, v6
	;; [unrolled: 2-line block ×12, first 2 shown]
	v_mbcnt_lo_u32_b32 v6, -1, 0
	v_mbcnt_hi_u32_b32 v11, -1, v6
	v_and_b32_e32 v6, 64, v11
	v_add_u32_e32 v12, 64, v6
	v_xor_b32_e32 v6, 1, v11
	v_cmp_lt_i32_e64 s[0:1], v6, v12
	v_cndmask_b32_e64 v6, v11, v6, s[0:1]
	v_lshlrev_b32_e32 v6, 2, v6
	ds_bpermute_b32 v13, v6, v4
	v_and_b32_e32 v14, 1, v0
	v_cmp_eq_u32_e64 s[0:1], 0, v14
	v_cndmask_b32_e64 v4, -v4, v4, s[0:1]
	ds_bpermute_b32 v14, v6, v9
	s_waitcnt lgkmcnt(1)
	v_add_f32_e32 v4, v4, v13
	ds_bpermute_b32 v13, v6, v10
	v_cndmask_b32_e64 v10, -v10, v10, s[0:1]
	v_cndmask_b32_e64 v9, -v9, v9, s[0:1]
	ds_bpermute_b32 v15, v6, v8
	s_waitcnt lgkmcnt(2)
	v_add_f32_e32 v9, v9, v14
	s_waitcnt lgkmcnt(1)
	v_add_f32_e32 v10, v10, v13
	ds_bpermute_b32 v13, v6, v3
	v_cndmask_b32_e64 v3, -v3, v3, s[0:1]
	ds_bpermute_b32 v14, v6, v7
	v_cndmask_b32_e64 v8, -v8, v8, s[0:1]
	v_cndmask_b32_e64 v7, -v7, v7, s[0:1]
	s_waitcnt lgkmcnt(1)
	v_add_f32_e32 v3, v3, v13
	ds_bpermute_b32 v13, v6, v5
	ds_bpermute_b32 v6, v6, v2
	v_cndmask_b32_e64 v2, -v2, v2, s[0:1]
	v_cndmask_b32_e64 v5, -v5, v5, s[0:1]
	s_waitcnt lgkmcnt(2)
	v_add_f32_e32 v7, v7, v14
	s_waitcnt lgkmcnt(1)
	v_add_f32_e32 v5, v5, v13
	;; [unrolled: 2-line block ×3, first 2 shown]
	v_xor_b32_e32 v6, 2, v11
	v_cmp_lt_i32_e64 s[0:1], v6, v12
	v_cndmask_b32_e64 v6, v11, v6, s[0:1]
	v_lshlrev_b32_e32 v6, 2, v6
	ds_bpermute_b32 v13, v6, v4
	v_and_b32_e32 v14, 2, v0
	v_cmp_eq_u32_e64 s[0:1], 0, v14
	v_cndmask_b32_e64 v4, -v4, v4, s[0:1]
	ds_bpermute_b32 v14, v6, v9
	s_waitcnt lgkmcnt(1)
	v_add_f32_e32 v4, v4, v13
	ds_bpermute_b32 v13, v6, v10
	v_cndmask_b32_e64 v10, -v10, v10, s[0:1]
	v_add_f32_e32 v8, v8, v15
	v_cndmask_b32_e64 v9, -v9, v9, s[0:1]
	ds_bpermute_b32 v15, v6, v8
	s_waitcnt lgkmcnt(1)
	v_add_f32_e32 v10, v10, v13
	ds_bpermute_b32 v13, v6, v3
	v_cndmask_b32_e64 v3, -v3, v3, s[0:1]
	v_add_f32_e32 v9, v9, v14
	ds_bpermute_b32 v14, v6, v7
	v_cndmask_b32_e64 v8, -v8, v8, s[0:1]
	s_waitcnt lgkmcnt(1)
	v_add_f32_e32 v13, v3, v13
	ds_bpermute_b32 v3, v6, v5
	ds_bpermute_b32 v6, v6, v2
	v_cndmask_b32_e64 v2, -v2, v2, s[0:1]
	v_add_f32_e32 v8, v8, v15
	v_cndmask_b32_e64 v7, -v7, v7, s[0:1]
	v_cndmask_b32_e64 v5, -v5, v5, s[0:1]
	s_waitcnt lgkmcnt(0)
	v_add_f32_e32 v15, v2, v6
	v_xor_b32_e32 v2, 4, v11
	v_cmp_lt_i32_e64 s[0:1], v2, v12
	v_cndmask_b32_e64 v2, v11, v2, s[0:1]
	v_lshlrev_b32_e32 v16, 2, v2
	ds_bpermute_b32 v2, v16, v4
	v_add_f32_e32 v7, v7, v14
	v_add_f32_e32 v14, v5, v3
	ds_bpermute_b32 v5, v16, v8
	v_and_b32_e32 v3, 4, v0
	v_cmp_eq_u32_e64 s[0:1], 0, v3
	v_cndmask_b32_e64 v3, -v4, v4, s[0:1]
	ds_bpermute_b32 v4, v16, v10
	s_waitcnt lgkmcnt(2)
	v_add_f32_e32 v2, v3, v2
	v_cndmask_b32_e64 v3, -v8, v8, s[0:1]
	s_waitcnt lgkmcnt(1)
	v_add_f32_e32 v3, v3, v5
	ds_bpermute_b32 v5, v16, v9
	v_cndmask_b32_e64 v6, -v10, v10, s[0:1]
	s_waitcnt lgkmcnt(1)
	v_add_f32_e32 v4, v6, v4
	ds_bpermute_b32 v6, v16, v13
	v_cndmask_b32_e64 v8, -v9, v9, s[0:1]
	ds_bpermute_b32 v9, v16, v7
	ds_bpermute_b32 v10, v16, v14
	s_waitcnt lgkmcnt(3)
	v_add_f32_e32 v5, v8, v5
	v_cndmask_b32_e64 v8, -v13, v13, s[0:1]
	ds_bpermute_b32 v13, v16, v15
	v_cndmask_b32_e64 v7, -v7, v7, s[0:1]
	s_waitcnt lgkmcnt(3)
	v_add_f32_e32 v6, v8, v6
	s_waitcnt lgkmcnt(2)
	v_add_f32_e32 v8, v7, v9
	v_cndmask_b32_e64 v7, -v14, v14, s[0:1]
	s_waitcnt lgkmcnt(1)
	v_add_f32_e32 v10, v7, v10
	v_cndmask_b32_e64 v7, -v15, v15, s[0:1]
	s_waitcnt lgkmcnt(0)
	v_add_f32_e32 v13, v7, v13
	v_xor_b32_e32 v7, 8, v11
	v_cmp_lt_i32_e64 s[0:1], v7, v12
	v_cndmask_b32_e64 v7, v11, v7, s[0:1]
	v_lshlrev_b32_e32 v17, 2, v7
	ds_bpermute_b32 v7, v17, v2
	ds_bpermute_b32 v9, v17, v3
	;; [unrolled: 1-line block ×8, first 2 shown]
	s_and_saveexec_b64 s[0:1], vcc
	s_cbranch_execz .LBB30_4
; %bb.3:
	s_load_dwordx2 s[0:1], s[4:5], 0x18
	s_load_dwordx2 s[8:9], s[4:5], 0x30
	s_load_dword s3, s[4:5], 0x20
	v_and_b32_e32 v0, 8, v0
	v_cmp_eq_u32_e32 vcc, 0, v0
	v_cndmask_b32_e64 v0, -v13, v13, vcc
	s_waitcnt lgkmcnt(0)
	s_mul_i32 s2, s0, s2
	s_mul_hi_u32 s4, s0, s6
	v_add_f32_e32 v0, v0, v17
	s_mul_i32 s1, s1, s6
	s_add_i32 s2, s4, s2
	v_cndmask_b32_e64 v2, -v2, v2, vcc
	v_mul_f32_e32 v0, s3, v0
	s_add_i32 s1, s2, s1
	v_cndmask_b32_e64 v10, -v10, v10, vcc
	v_cndmask_b32_e64 v3, -v3, v3, vcc
	v_add_f32_e32 v2, v2, v7
	v_bfe_u32 v7, v0, 16, 1
	s_movk_i32 s2, 0x7fff
	v_add_f32_e32 v10, v10, v16
	v_cndmask_b32_e64 v8, -v8, v8, vcc
	v_cndmask_b32_e64 v6, -v6, v6, vcc
	;; [unrolled: 1-line block ×4, first 2 shown]
	v_add_f32_e32 v3, v3, v9
	v_add3_u32 v7, v7, v0, s2
	v_or_b32_e32 v9, 0x400000, v0
	v_cmp_u_f32_e32 vcc, v0, v0
	v_cndmask_b32_e32 v0, v7, v9, vcc
	v_mul_f32_e32 v7, s3, v10
	v_add_f32_e32 v8, v8, v15
	v_bfe_u32 v9, v7, 16, 1
	v_add3_u32 v9, v9, v7, s2
	v_or_b32_e32 v10, 0x400000, v7
	v_cmp_u_f32_e32 vcc, v7, v7
	v_mul_f32_e32 v8, s3, v8
	v_add_f32_e32 v6, v6, v14
	v_cndmask_b32_e32 v7, v9, v10, vcc
	v_bfe_u32 v9, v8, 16, 1
	v_add3_u32 v9, v9, v8, s2
	v_or_b32_e32 v10, 0x400000, v8
	v_cmp_u_f32_e32 vcc, v8, v8
	v_mul_f32_e32 v6, s3, v6
	v_add_f32_e32 v5, v5, v12
	v_cndmask_b32_e32 v8, v9, v10, vcc
	v_bfe_u32 v9, v6, 16, 1
	v_add_f32_e32 v4, v4, v11
	v_add3_u32 v9, v9, v6, s2
	v_or_b32_e32 v10, 0x400000, v6
	v_cmp_u_f32_e32 vcc, v6, v6
	v_mul_f32_e32 v5, s3, v5
	v_cndmask_b32_e32 v6, v9, v10, vcc
	v_bfe_u32 v9, v5, 16, 1
	v_mul_f32_e32 v4, s3, v4
	v_add3_u32 v9, v9, v5, s2
	v_or_b32_e32 v10, 0x400000, v5
	v_cmp_u_f32_e32 vcc, v5, v5
	v_bfe_u32 v5, v4, 16, 1
	v_mul_f32_e32 v3, s3, v3
	v_cndmask_b32_e32 v9, v9, v10, vcc
	v_add3_u32 v5, v5, v4, s2
	v_or_b32_e32 v10, 0x400000, v4
	v_cmp_u_f32_e32 vcc, v4, v4
	v_bfe_u32 v4, v3, 16, 1
	v_mul_f32_e32 v2, s3, v2
	s_mul_i32 s0, s0, s6
	v_cndmask_b32_e32 v10, v5, v10, vcc
	v_add3_u32 v4, v4, v3, s2
	v_or_b32_e32 v5, 0x400000, v3
	v_cmp_u_f32_e32 vcc, v3, v3
	v_bfe_u32 v3, v2, 16, 1
	s_lshl_b64 s[0:1], s[0:1], 1
	v_cndmask_b32_e32 v11, v4, v5, vcc
	v_add3_u32 v3, v3, v2, s2
	v_or_b32_e32 v4, 0x400000, v2
	v_cmp_u_f32_e32 vcc, v2, v2
	s_add_u32 s0, s8, s0
	v_cndmask_b32_e32 v2, v3, v4, vcc
	s_mov_b32 s2, 0x7060302
	s_addc_u32 s1, s9, s1
	v_perm_b32 v5, v0, v7, s2
	v_perm_b32 v4, v8, v6, s2
	;; [unrolled: 1-line block ×4, first 2 shown]
	global_store_dwordx4 v1, v[2:5], s[0:1]
.LBB30_4:
	s_endpgm
	.section	.rodata,"a",@progbits
	.p2align	6, 0x0
	.amdhsa_kernel _Z30fast_hadamard_transform_kernelI37fast_hadamard_transform_kernel_traitsILi16ELi7E14__hip_bfloat16EEv18HadamardParamsBase
		.amdhsa_group_segment_fixed_size 0
		.amdhsa_private_segment_fixed_size 0
		.amdhsa_kernarg_size 56
		.amdhsa_user_sgpr_count 6
		.amdhsa_user_sgpr_private_segment_buffer 1
		.amdhsa_user_sgpr_dispatch_ptr 0
		.amdhsa_user_sgpr_queue_ptr 0
		.amdhsa_user_sgpr_kernarg_segment_ptr 1
		.amdhsa_user_sgpr_dispatch_id 0
		.amdhsa_user_sgpr_flat_scratch_init 0
		.amdhsa_user_sgpr_private_segment_size 0
		.amdhsa_uses_dynamic_stack 0
		.amdhsa_system_sgpr_private_segment_wavefront_offset 0
		.amdhsa_system_sgpr_workgroup_id_x 1
		.amdhsa_system_sgpr_workgroup_id_y 0
		.amdhsa_system_sgpr_workgroup_id_z 0
		.amdhsa_system_sgpr_workgroup_info 0
		.amdhsa_system_vgpr_workitem_id 0
		.amdhsa_next_free_vgpr 18
		.amdhsa_next_free_sgpr 12
		.amdhsa_reserve_vcc 1
		.amdhsa_reserve_flat_scratch 0
		.amdhsa_float_round_mode_32 0
		.amdhsa_float_round_mode_16_64 0
		.amdhsa_float_denorm_mode_32 3
		.amdhsa_float_denorm_mode_16_64 3
		.amdhsa_dx10_clamp 1
		.amdhsa_ieee_mode 1
		.amdhsa_fp16_overflow 0
		.amdhsa_exception_fp_ieee_invalid_op 0
		.amdhsa_exception_fp_denorm_src 0
		.amdhsa_exception_fp_ieee_div_zero 0
		.amdhsa_exception_fp_ieee_overflow 0
		.amdhsa_exception_fp_ieee_underflow 0
		.amdhsa_exception_fp_ieee_inexact 0
		.amdhsa_exception_int_div_zero 0
	.end_amdhsa_kernel
	.section	.text._Z30fast_hadamard_transform_kernelI37fast_hadamard_transform_kernel_traitsILi16ELi7E14__hip_bfloat16EEv18HadamardParamsBase,"axG",@progbits,_Z30fast_hadamard_transform_kernelI37fast_hadamard_transform_kernel_traitsILi16ELi7E14__hip_bfloat16EEv18HadamardParamsBase,comdat
.Lfunc_end30:
	.size	_Z30fast_hadamard_transform_kernelI37fast_hadamard_transform_kernel_traitsILi16ELi7E14__hip_bfloat16EEv18HadamardParamsBase, .Lfunc_end30-_Z30fast_hadamard_transform_kernelI37fast_hadamard_transform_kernel_traitsILi16ELi7E14__hip_bfloat16EEv18HadamardParamsBase
                                        ; -- End function
	.set _Z30fast_hadamard_transform_kernelI37fast_hadamard_transform_kernel_traitsILi16ELi7E14__hip_bfloat16EEv18HadamardParamsBase.num_vgpr, 18
	.set _Z30fast_hadamard_transform_kernelI37fast_hadamard_transform_kernel_traitsILi16ELi7E14__hip_bfloat16EEv18HadamardParamsBase.num_agpr, 0
	.set _Z30fast_hadamard_transform_kernelI37fast_hadamard_transform_kernel_traitsILi16ELi7E14__hip_bfloat16EEv18HadamardParamsBase.numbered_sgpr, 12
	.set _Z30fast_hadamard_transform_kernelI37fast_hadamard_transform_kernel_traitsILi16ELi7E14__hip_bfloat16EEv18HadamardParamsBase.num_named_barrier, 0
	.set _Z30fast_hadamard_transform_kernelI37fast_hadamard_transform_kernel_traitsILi16ELi7E14__hip_bfloat16EEv18HadamardParamsBase.private_seg_size, 0
	.set _Z30fast_hadamard_transform_kernelI37fast_hadamard_transform_kernel_traitsILi16ELi7E14__hip_bfloat16EEv18HadamardParamsBase.uses_vcc, 1
	.set _Z30fast_hadamard_transform_kernelI37fast_hadamard_transform_kernel_traitsILi16ELi7E14__hip_bfloat16EEv18HadamardParamsBase.uses_flat_scratch, 0
	.set _Z30fast_hadamard_transform_kernelI37fast_hadamard_transform_kernel_traitsILi16ELi7E14__hip_bfloat16EEv18HadamardParamsBase.has_dyn_sized_stack, 0
	.set _Z30fast_hadamard_transform_kernelI37fast_hadamard_transform_kernel_traitsILi16ELi7E14__hip_bfloat16EEv18HadamardParamsBase.has_recursion, 0
	.set _Z30fast_hadamard_transform_kernelI37fast_hadamard_transform_kernel_traitsILi16ELi7E14__hip_bfloat16EEv18HadamardParamsBase.has_indirect_call, 0
	.section	.AMDGPU.csdata,"",@progbits
; Kernel info:
; codeLenInByte = 1580
; TotalNumSgprs: 16
; NumVgprs: 18
; ScratchSize: 0
; MemoryBound: 0
; FloatMode: 240
; IeeeMode: 1
; LDSByteSize: 0 bytes/workgroup (compile time only)
; SGPRBlocks: 1
; VGPRBlocks: 4
; NumSGPRsForWavesPerEU: 16
; NumVGPRsForWavesPerEU: 18
; Occupancy: 10
; WaveLimiterHint : 0
; COMPUTE_PGM_RSRC2:SCRATCH_EN: 0
; COMPUTE_PGM_RSRC2:USER_SGPR: 6
; COMPUTE_PGM_RSRC2:TRAP_HANDLER: 0
; COMPUTE_PGM_RSRC2:TGID_X_EN: 1
; COMPUTE_PGM_RSRC2:TGID_Y_EN: 0
; COMPUTE_PGM_RSRC2:TGID_Z_EN: 0
; COMPUTE_PGM_RSRC2:TIDIG_COMP_CNT: 0
	.section	.text._Z30fast_hadamard_transform_kernelI37fast_hadamard_transform_kernel_traitsILi32ELi8E14__hip_bfloat16EEv18HadamardParamsBase,"axG",@progbits,_Z30fast_hadamard_transform_kernelI37fast_hadamard_transform_kernel_traitsILi32ELi8E14__hip_bfloat16EEv18HadamardParamsBase,comdat
	.protected	_Z30fast_hadamard_transform_kernelI37fast_hadamard_transform_kernel_traitsILi32ELi8E14__hip_bfloat16EEv18HadamardParamsBase ; -- Begin function _Z30fast_hadamard_transform_kernelI37fast_hadamard_transform_kernel_traitsILi32ELi8E14__hip_bfloat16EEv18HadamardParamsBase
	.globl	_Z30fast_hadamard_transform_kernelI37fast_hadamard_transform_kernel_traitsILi32ELi8E14__hip_bfloat16EEv18HadamardParamsBase
	.p2align	8
	.type	_Z30fast_hadamard_transform_kernelI37fast_hadamard_transform_kernel_traitsILi32ELi8E14__hip_bfloat16EEv18HadamardParamsBase,@function
_Z30fast_hadamard_transform_kernelI37fast_hadamard_transform_kernel_traitsILi32ELi8E14__hip_bfloat16EEv18HadamardParamsBase: ; @_Z30fast_hadamard_transform_kernelI37fast_hadamard_transform_kernel_traitsILi32ELi8E14__hip_bfloat16EEv18HadamardParamsBase
; %bb.0:
	s_load_dword s0, s[4:5], 0x4
	v_lshlrev_b32_e32 v1, 3, v0
	s_ashr_i32 s2, s6, 31
	v_mov_b32_e32 v2, 0
	v_mov_b32_e32 v3, 0
	s_waitcnt lgkmcnt(0)
	v_cmp_gt_u32_e32 vcc, s0, v1
	v_lshlrev_b32_e32 v1, 4, v0
	v_mov_b32_e32 v4, 0
	v_mov_b32_e32 v5, 0
	;; [unrolled: 1-line block ×6, first 2 shown]
	s_and_saveexec_b64 s[0:1], vcc
	s_cbranch_execz .LBB31_2
; %bb.1:
	s_load_dwordx2 s[8:9], s[4:5], 0x10
	s_load_dwordx2 s[10:11], s[4:5], 0x28
	s_waitcnt lgkmcnt(0)
	s_mul_i32 s3, s8, s2
	s_mul_hi_u32 s7, s8, s6
	s_mul_i32 s9, s9, s6
	s_add_i32 s3, s7, s3
	s_mul_i32 s8, s8, s6
	s_add_i32 s9, s3, s9
	s_lshl_b64 s[8:9], s[8:9], 1
	s_add_u32 s8, s10, s8
	s_addc_u32 s9, s11, s9
	global_load_dwordx4 v[10:13], v1, s[8:9]
	s_waitcnt vmcnt(0)
	v_lshlrev_b32_e32 v9, 16, v10
	v_and_b32_e32 v8, 0xffff0000, v10
	v_lshlrev_b32_e32 v7, 16, v11
	v_and_b32_e32 v6, 0xffff0000, v11
	v_lshlrev_b32_e32 v5, 16, v12
	v_and_b32_e32 v4, 0xffff0000, v12
	v_lshlrev_b32_e32 v3, 16, v13
	v_and_b32_e32 v2, 0xffff0000, v13
.LBB31_2:
	s_or_b64 exec, exec, s[0:1]
	v_add_f32_e32 v10, v8, v9
	v_sub_f32_e32 v8, v9, v8
	v_add_f32_e32 v9, v6, v7
	v_sub_f32_e32 v6, v7, v6
	;; [unrolled: 2-line block ×12, first 2 shown]
	v_mbcnt_lo_u32_b32 v6, -1, 0
	v_mbcnt_hi_u32_b32 v11, -1, v6
	v_and_b32_e32 v6, 64, v11
	v_add_u32_e32 v12, 64, v6
	v_xor_b32_e32 v6, 1, v11
	v_cmp_lt_i32_e64 s[0:1], v6, v12
	v_cndmask_b32_e64 v6, v11, v6, s[0:1]
	v_lshlrev_b32_e32 v6, 2, v6
	ds_bpermute_b32 v13, v6, v4
	v_and_b32_e32 v14, 1, v0
	v_cmp_eq_u32_e64 s[0:1], 0, v14
	v_cndmask_b32_e64 v4, -v4, v4, s[0:1]
	ds_bpermute_b32 v14, v6, v9
	s_waitcnt lgkmcnt(1)
	v_add_f32_e32 v4, v4, v13
	ds_bpermute_b32 v13, v6, v10
	v_cndmask_b32_e64 v10, -v10, v10, s[0:1]
	v_cndmask_b32_e64 v9, -v9, v9, s[0:1]
	ds_bpermute_b32 v15, v6, v8
	s_waitcnt lgkmcnt(2)
	v_add_f32_e32 v9, v9, v14
	s_waitcnt lgkmcnt(1)
	v_add_f32_e32 v10, v10, v13
	ds_bpermute_b32 v13, v6, v3
	v_cndmask_b32_e64 v3, -v3, v3, s[0:1]
	ds_bpermute_b32 v14, v6, v7
	v_cndmask_b32_e64 v8, -v8, v8, s[0:1]
	v_cndmask_b32_e64 v7, -v7, v7, s[0:1]
	s_waitcnt lgkmcnt(1)
	v_add_f32_e32 v3, v3, v13
	ds_bpermute_b32 v13, v6, v5
	ds_bpermute_b32 v6, v6, v2
	v_cndmask_b32_e64 v2, -v2, v2, s[0:1]
	v_cndmask_b32_e64 v5, -v5, v5, s[0:1]
	s_waitcnt lgkmcnt(2)
	v_add_f32_e32 v7, v7, v14
	s_waitcnt lgkmcnt(1)
	v_add_f32_e32 v5, v5, v13
	;; [unrolled: 2-line block ×3, first 2 shown]
	v_xor_b32_e32 v6, 2, v11
	v_cmp_lt_i32_e64 s[0:1], v6, v12
	v_cndmask_b32_e64 v6, v11, v6, s[0:1]
	v_lshlrev_b32_e32 v6, 2, v6
	ds_bpermute_b32 v13, v6, v4
	v_and_b32_e32 v14, 2, v0
	v_cmp_eq_u32_e64 s[0:1], 0, v14
	v_cndmask_b32_e64 v4, -v4, v4, s[0:1]
	ds_bpermute_b32 v14, v6, v9
	s_waitcnt lgkmcnt(1)
	v_add_f32_e32 v4, v4, v13
	ds_bpermute_b32 v13, v6, v10
	v_cndmask_b32_e64 v10, -v10, v10, s[0:1]
	v_add_f32_e32 v8, v8, v15
	v_cndmask_b32_e64 v9, -v9, v9, s[0:1]
	ds_bpermute_b32 v15, v6, v8
	s_waitcnt lgkmcnt(1)
	v_add_f32_e32 v10, v10, v13
	ds_bpermute_b32 v13, v6, v3
	v_cndmask_b32_e64 v3, -v3, v3, s[0:1]
	v_add_f32_e32 v9, v9, v14
	ds_bpermute_b32 v14, v6, v7
	v_cndmask_b32_e64 v8, -v8, v8, s[0:1]
	s_waitcnt lgkmcnt(1)
	v_add_f32_e32 v3, v3, v13
	ds_bpermute_b32 v13, v6, v5
	ds_bpermute_b32 v6, v6, v2
	v_cndmask_b32_e64 v2, -v2, v2, s[0:1]
	v_cndmask_b32_e64 v7, -v7, v7, s[0:1]
	v_cndmask_b32_e64 v5, -v5, v5, s[0:1]
	s_waitcnt lgkmcnt(1)
	v_add_f32_e32 v5, v5, v13
	s_waitcnt lgkmcnt(0)
	v_add_f32_e32 v2, v2, v6
	v_xor_b32_e32 v6, 4, v11
	v_cmp_lt_i32_e64 s[0:1], v6, v12
	v_cndmask_b32_e64 v6, v11, v6, s[0:1]
	v_lshlrev_b32_e32 v6, 2, v6
	ds_bpermute_b32 v13, v6, v4
	v_add_f32_e32 v7, v7, v14
	v_and_b32_e32 v14, 4, v0
	v_cmp_eq_u32_e64 s[0:1], 0, v14
	v_cndmask_b32_e64 v4, -v4, v4, s[0:1]
	s_waitcnt lgkmcnt(0)
	v_add_f32_e32 v4, v4, v13
	ds_bpermute_b32 v13, v6, v10
	v_cndmask_b32_e64 v10, -v10, v10, s[0:1]
	ds_bpermute_b32 v14, v6, v9
	v_add_f32_e32 v8, v8, v15
	v_cndmask_b32_e64 v9, -v9, v9, s[0:1]
	s_waitcnt lgkmcnt(1)
	v_add_f32_e32 v10, v10, v13
	ds_bpermute_b32 v13, v6, v3
	v_cndmask_b32_e64 v3, -v3, v3, s[0:1]
	ds_bpermute_b32 v15, v6, v8
	s_waitcnt lgkmcnt(2)
	v_add_f32_e32 v9, v9, v14
	ds_bpermute_b32 v14, v6, v7
	s_waitcnt lgkmcnt(2)
	v_add_f32_e32 v13, v3, v13
	ds_bpermute_b32 v3, v6, v5
	ds_bpermute_b32 v6, v6, v2
	v_cndmask_b32_e64 v8, -v8, v8, s[0:1]
	v_cndmask_b32_e64 v2, -v2, v2, s[0:1]
	s_waitcnt lgkmcnt(3)
	v_add_f32_e32 v8, v8, v15
	v_cndmask_b32_e64 v7, -v7, v7, s[0:1]
	s_waitcnt lgkmcnt(0)
	v_add_f32_e32 v15, v2, v6
	v_xor_b32_e32 v2, 8, v11
	v_cndmask_b32_e64 v5, -v5, v5, s[0:1]
	v_cmp_lt_i32_e64 s[0:1], v2, v12
	v_cndmask_b32_e64 v2, v11, v2, s[0:1]
	v_lshlrev_b32_e32 v16, 2, v2
	ds_bpermute_b32 v2, v16, v4
	v_add_f32_e32 v7, v7, v14
	v_add_f32_e32 v14, v5, v3
	ds_bpermute_b32 v5, v16, v8
	v_and_b32_e32 v3, 8, v0
	v_cmp_eq_u32_e64 s[0:1], 0, v3
	v_cndmask_b32_e64 v3, -v4, v4, s[0:1]
	ds_bpermute_b32 v4, v16, v10
	s_waitcnt lgkmcnt(2)
	v_add_f32_e32 v2, v3, v2
	v_cndmask_b32_e64 v3, -v8, v8, s[0:1]
	s_waitcnt lgkmcnt(1)
	v_add_f32_e32 v3, v3, v5
	ds_bpermute_b32 v5, v16, v9
	v_cndmask_b32_e64 v6, -v10, v10, s[0:1]
	s_waitcnt lgkmcnt(1)
	v_add_f32_e32 v4, v6, v4
	ds_bpermute_b32 v6, v16, v13
	v_cndmask_b32_e64 v8, -v9, v9, s[0:1]
	ds_bpermute_b32 v9, v16, v7
	ds_bpermute_b32 v10, v16, v14
	s_waitcnt lgkmcnt(3)
	v_add_f32_e32 v5, v8, v5
	v_cndmask_b32_e64 v8, -v13, v13, s[0:1]
	ds_bpermute_b32 v13, v16, v15
	v_cndmask_b32_e64 v7, -v7, v7, s[0:1]
	s_waitcnt lgkmcnt(3)
	v_add_f32_e32 v6, v8, v6
	s_waitcnt lgkmcnt(2)
	v_add_f32_e32 v8, v7, v9
	v_cndmask_b32_e64 v7, -v14, v14, s[0:1]
	s_waitcnt lgkmcnt(1)
	v_add_f32_e32 v10, v7, v10
	v_cndmask_b32_e64 v7, -v15, v15, s[0:1]
	s_waitcnt lgkmcnt(0)
	v_add_f32_e32 v13, v7, v13
	v_xor_b32_e32 v7, 16, v11
	v_cmp_lt_i32_e64 s[0:1], v7, v12
	v_cndmask_b32_e64 v7, v11, v7, s[0:1]
	v_lshlrev_b32_e32 v17, 2, v7
	ds_bpermute_b32 v7, v17, v2
	ds_bpermute_b32 v9, v17, v3
	;; [unrolled: 1-line block ×8, first 2 shown]
	s_and_saveexec_b64 s[0:1], vcc
	s_cbranch_execz .LBB31_4
; %bb.3:
	s_load_dwordx2 s[0:1], s[4:5], 0x18
	s_load_dwordx2 s[8:9], s[4:5], 0x30
	s_load_dword s3, s[4:5], 0x20
	v_and_b32_e32 v0, 16, v0
	v_cmp_eq_u32_e32 vcc, 0, v0
	v_cndmask_b32_e64 v0, -v13, v13, vcc
	s_waitcnt lgkmcnt(0)
	s_mul_i32 s2, s0, s2
	s_mul_hi_u32 s4, s0, s6
	v_add_f32_e32 v0, v0, v17
	s_mul_i32 s1, s1, s6
	s_add_i32 s2, s4, s2
	v_cndmask_b32_e64 v2, -v2, v2, vcc
	v_mul_f32_e32 v0, s3, v0
	s_add_i32 s1, s2, s1
	v_cndmask_b32_e64 v10, -v10, v10, vcc
	v_cndmask_b32_e64 v3, -v3, v3, vcc
	v_add_f32_e32 v2, v2, v7
	v_bfe_u32 v7, v0, 16, 1
	s_movk_i32 s2, 0x7fff
	v_add_f32_e32 v10, v10, v16
	v_cndmask_b32_e64 v8, -v8, v8, vcc
	v_cndmask_b32_e64 v6, -v6, v6, vcc
	;; [unrolled: 1-line block ×4, first 2 shown]
	v_add_f32_e32 v3, v3, v9
	v_add3_u32 v7, v7, v0, s2
	v_or_b32_e32 v9, 0x400000, v0
	v_cmp_u_f32_e32 vcc, v0, v0
	v_cndmask_b32_e32 v0, v7, v9, vcc
	v_mul_f32_e32 v7, s3, v10
	v_add_f32_e32 v8, v8, v15
	v_bfe_u32 v9, v7, 16, 1
	v_add3_u32 v9, v9, v7, s2
	v_or_b32_e32 v10, 0x400000, v7
	v_cmp_u_f32_e32 vcc, v7, v7
	v_mul_f32_e32 v8, s3, v8
	v_add_f32_e32 v6, v6, v14
	v_cndmask_b32_e32 v7, v9, v10, vcc
	v_bfe_u32 v9, v8, 16, 1
	v_add3_u32 v9, v9, v8, s2
	v_or_b32_e32 v10, 0x400000, v8
	v_cmp_u_f32_e32 vcc, v8, v8
	v_mul_f32_e32 v6, s3, v6
	v_add_f32_e32 v5, v5, v12
	v_cndmask_b32_e32 v8, v9, v10, vcc
	v_bfe_u32 v9, v6, 16, 1
	v_add_f32_e32 v4, v4, v11
	v_add3_u32 v9, v9, v6, s2
	v_or_b32_e32 v10, 0x400000, v6
	v_cmp_u_f32_e32 vcc, v6, v6
	v_mul_f32_e32 v5, s3, v5
	v_cndmask_b32_e32 v6, v9, v10, vcc
	v_bfe_u32 v9, v5, 16, 1
	v_mul_f32_e32 v4, s3, v4
	v_add3_u32 v9, v9, v5, s2
	v_or_b32_e32 v10, 0x400000, v5
	v_cmp_u_f32_e32 vcc, v5, v5
	v_bfe_u32 v5, v4, 16, 1
	v_mul_f32_e32 v3, s3, v3
	v_cndmask_b32_e32 v9, v9, v10, vcc
	v_add3_u32 v5, v5, v4, s2
	v_or_b32_e32 v10, 0x400000, v4
	v_cmp_u_f32_e32 vcc, v4, v4
	v_bfe_u32 v4, v3, 16, 1
	v_mul_f32_e32 v2, s3, v2
	s_mul_i32 s0, s0, s6
	v_cndmask_b32_e32 v10, v5, v10, vcc
	v_add3_u32 v4, v4, v3, s2
	v_or_b32_e32 v5, 0x400000, v3
	v_cmp_u_f32_e32 vcc, v3, v3
	v_bfe_u32 v3, v2, 16, 1
	s_lshl_b64 s[0:1], s[0:1], 1
	v_cndmask_b32_e32 v11, v4, v5, vcc
	v_add3_u32 v3, v3, v2, s2
	v_or_b32_e32 v4, 0x400000, v2
	v_cmp_u_f32_e32 vcc, v2, v2
	s_add_u32 s0, s8, s0
	v_cndmask_b32_e32 v2, v3, v4, vcc
	s_mov_b32 s2, 0x7060302
	s_addc_u32 s1, s9, s1
	v_perm_b32 v5, v0, v7, s2
	v_perm_b32 v4, v8, v6, s2
	;; [unrolled: 1-line block ×4, first 2 shown]
	global_store_dwordx4 v1, v[2:5], s[0:1]
.LBB31_4:
	s_endpgm
	.section	.rodata,"a",@progbits
	.p2align	6, 0x0
	.amdhsa_kernel _Z30fast_hadamard_transform_kernelI37fast_hadamard_transform_kernel_traitsILi32ELi8E14__hip_bfloat16EEv18HadamardParamsBase
		.amdhsa_group_segment_fixed_size 0
		.amdhsa_private_segment_fixed_size 0
		.amdhsa_kernarg_size 56
		.amdhsa_user_sgpr_count 6
		.amdhsa_user_sgpr_private_segment_buffer 1
		.amdhsa_user_sgpr_dispatch_ptr 0
		.amdhsa_user_sgpr_queue_ptr 0
		.amdhsa_user_sgpr_kernarg_segment_ptr 1
		.amdhsa_user_sgpr_dispatch_id 0
		.amdhsa_user_sgpr_flat_scratch_init 0
		.amdhsa_user_sgpr_private_segment_size 0
		.amdhsa_uses_dynamic_stack 0
		.amdhsa_system_sgpr_private_segment_wavefront_offset 0
		.amdhsa_system_sgpr_workgroup_id_x 1
		.amdhsa_system_sgpr_workgroup_id_y 0
		.amdhsa_system_sgpr_workgroup_id_z 0
		.amdhsa_system_sgpr_workgroup_info 0
		.amdhsa_system_vgpr_workitem_id 0
		.amdhsa_next_free_vgpr 18
		.amdhsa_next_free_sgpr 12
		.amdhsa_reserve_vcc 1
		.amdhsa_reserve_flat_scratch 0
		.amdhsa_float_round_mode_32 0
		.amdhsa_float_round_mode_16_64 0
		.amdhsa_float_denorm_mode_32 3
		.amdhsa_float_denorm_mode_16_64 3
		.amdhsa_dx10_clamp 1
		.amdhsa_ieee_mode 1
		.amdhsa_fp16_overflow 0
		.amdhsa_exception_fp_ieee_invalid_op 0
		.amdhsa_exception_fp_denorm_src 0
		.amdhsa_exception_fp_ieee_div_zero 0
		.amdhsa_exception_fp_ieee_overflow 0
		.amdhsa_exception_fp_ieee_underflow 0
		.amdhsa_exception_fp_ieee_inexact 0
		.amdhsa_exception_int_div_zero 0
	.end_amdhsa_kernel
	.section	.text._Z30fast_hadamard_transform_kernelI37fast_hadamard_transform_kernel_traitsILi32ELi8E14__hip_bfloat16EEv18HadamardParamsBase,"axG",@progbits,_Z30fast_hadamard_transform_kernelI37fast_hadamard_transform_kernel_traitsILi32ELi8E14__hip_bfloat16EEv18HadamardParamsBase,comdat
.Lfunc_end31:
	.size	_Z30fast_hadamard_transform_kernelI37fast_hadamard_transform_kernel_traitsILi32ELi8E14__hip_bfloat16EEv18HadamardParamsBase, .Lfunc_end31-_Z30fast_hadamard_transform_kernelI37fast_hadamard_transform_kernel_traitsILi32ELi8E14__hip_bfloat16EEv18HadamardParamsBase
                                        ; -- End function
	.set _Z30fast_hadamard_transform_kernelI37fast_hadamard_transform_kernel_traitsILi32ELi8E14__hip_bfloat16EEv18HadamardParamsBase.num_vgpr, 18
	.set _Z30fast_hadamard_transform_kernelI37fast_hadamard_transform_kernel_traitsILi32ELi8E14__hip_bfloat16EEv18HadamardParamsBase.num_agpr, 0
	.set _Z30fast_hadamard_transform_kernelI37fast_hadamard_transform_kernel_traitsILi32ELi8E14__hip_bfloat16EEv18HadamardParamsBase.numbered_sgpr, 12
	.set _Z30fast_hadamard_transform_kernelI37fast_hadamard_transform_kernel_traitsILi32ELi8E14__hip_bfloat16EEv18HadamardParamsBase.num_named_barrier, 0
	.set _Z30fast_hadamard_transform_kernelI37fast_hadamard_transform_kernel_traitsILi32ELi8E14__hip_bfloat16EEv18HadamardParamsBase.private_seg_size, 0
	.set _Z30fast_hadamard_transform_kernelI37fast_hadamard_transform_kernel_traitsILi32ELi8E14__hip_bfloat16EEv18HadamardParamsBase.uses_vcc, 1
	.set _Z30fast_hadamard_transform_kernelI37fast_hadamard_transform_kernel_traitsILi32ELi8E14__hip_bfloat16EEv18HadamardParamsBase.uses_flat_scratch, 0
	.set _Z30fast_hadamard_transform_kernelI37fast_hadamard_transform_kernel_traitsILi32ELi8E14__hip_bfloat16EEv18HadamardParamsBase.has_dyn_sized_stack, 0
	.set _Z30fast_hadamard_transform_kernelI37fast_hadamard_transform_kernel_traitsILi32ELi8E14__hip_bfloat16EEv18HadamardParamsBase.has_recursion, 0
	.set _Z30fast_hadamard_transform_kernelI37fast_hadamard_transform_kernel_traitsILi32ELi8E14__hip_bfloat16EEv18HadamardParamsBase.has_indirect_call, 0
	.section	.AMDGPU.csdata,"",@progbits
; Kernel info:
; codeLenInByte = 1804
; TotalNumSgprs: 16
; NumVgprs: 18
; ScratchSize: 0
; MemoryBound: 0
; FloatMode: 240
; IeeeMode: 1
; LDSByteSize: 0 bytes/workgroup (compile time only)
; SGPRBlocks: 1
; VGPRBlocks: 4
; NumSGPRsForWavesPerEU: 16
; NumVGPRsForWavesPerEU: 18
; Occupancy: 10
; WaveLimiterHint : 0
; COMPUTE_PGM_RSRC2:SCRATCH_EN: 0
; COMPUTE_PGM_RSRC2:USER_SGPR: 6
; COMPUTE_PGM_RSRC2:TRAP_HANDLER: 0
; COMPUTE_PGM_RSRC2:TGID_X_EN: 1
; COMPUTE_PGM_RSRC2:TGID_Y_EN: 0
; COMPUTE_PGM_RSRC2:TGID_Z_EN: 0
; COMPUTE_PGM_RSRC2:TIDIG_COMP_CNT: 0
	.section	.text._Z30fast_hadamard_transform_kernelI37fast_hadamard_transform_kernel_traitsILi32ELi9E14__hip_bfloat16EEv18HadamardParamsBase,"axG",@progbits,_Z30fast_hadamard_transform_kernelI37fast_hadamard_transform_kernel_traitsILi32ELi9E14__hip_bfloat16EEv18HadamardParamsBase,comdat
	.protected	_Z30fast_hadamard_transform_kernelI37fast_hadamard_transform_kernel_traitsILi32ELi9E14__hip_bfloat16EEv18HadamardParamsBase ; -- Begin function _Z30fast_hadamard_transform_kernelI37fast_hadamard_transform_kernel_traitsILi32ELi9E14__hip_bfloat16EEv18HadamardParamsBase
	.globl	_Z30fast_hadamard_transform_kernelI37fast_hadamard_transform_kernel_traitsILi32ELi9E14__hip_bfloat16EEv18HadamardParamsBase
	.p2align	8
	.type	_Z30fast_hadamard_transform_kernelI37fast_hadamard_transform_kernel_traitsILi32ELi9E14__hip_bfloat16EEv18HadamardParamsBase,@function
_Z30fast_hadamard_transform_kernelI37fast_hadamard_transform_kernel_traitsILi32ELi9E14__hip_bfloat16EEv18HadamardParamsBase: ; @_Z30fast_hadamard_transform_kernelI37fast_hadamard_transform_kernel_traitsILi32ELi9E14__hip_bfloat16EEv18HadamardParamsBase
; %bb.0:
	s_load_dwordx4 s[16:19], s[4:5], 0x10
	s_load_dword s10, s[4:5], 0x4
	s_load_dwordx4 s[12:15], s[4:5], 0x28
	s_ashr_i32 s7, s6, 31
	s_load_dword s11, s[4:5], 0x44
	s_waitcnt lgkmcnt(0)
	s_mul_hi_u32 s0, s16, s6
	s_mul_i32 s1, s16, s7
	s_add_i32 s0, s0, s1
	s_mul_i32 s1, s17, s6
	s_add_i32 s1, s0, s1
	s_mul_i32 s0, s16, s6
	s_lshl_b64 s[0:1], s[0:1], 1
	s_add_u32 s2, s12, s0
	v_lshlrev_b32_e32 v1, 3, v0
	s_addc_u32 s3, s13, s1
	v_cmp_gt_u32_e64 s[0:1], s10, v1
	v_mov_b32_e32 v3, 0
	v_lshlrev_b32_e32 v2, 4, v0
	v_mov_b32_e32 v4, 0
	v_mov_b32_e32 v5, 0
	;; [unrolled: 1-line block ×8, first 2 shown]
	s_and_saveexec_b64 s[8:9], s[0:1]
	s_cbranch_execz .LBB32_2
; %bb.1:
	global_load_dwordx4 v[12:15], v2, s[2:3]
	s_waitcnt vmcnt(0)
	v_lshlrev_b32_e32 v11, 16, v12
	v_and_b32_e32 v10, 0xffff0000, v12
	v_lshlrev_b32_e32 v9, 16, v13
	v_and_b32_e32 v8, 0xffff0000, v13
	;; [unrolled: 2-line block ×4, first 2 shown]
.LBB32_2:
	s_or_b64 exec, exec, s[8:9]
	s_and_b32 s8, 0xffff, s11
	v_add_u32_e32 v1, s8, v0
	v_lshlrev_b32_e32 v12, 3, v1
	v_cmp_gt_u32_e32 vcc, s10, v12
	v_lshlrev_b32_e32 v1, 4, v1
	v_mov_b32_e32 v12, 0
	v_mov_b32_e32 v13, 0
	;; [unrolled: 1-line block ×7, first 2 shown]
	s_and_saveexec_b64 s[8:9], vcc
	s_cbranch_execz .LBB32_4
; %bb.3:
	global_load_dwordx4 v[19:22], v1, s[2:3]
	s_waitcnt vmcnt(0)
	v_lshlrev_b32_e32 v18, 16, v19
	v_and_b32_e32 v17, 0xffff0000, v19
	v_lshlrev_b32_e32 v16, 16, v20
	v_and_b32_e32 v15, 0xffff0000, v20
	;; [unrolled: 2-line block ×4, first 2 shown]
.LBB32_4:
	s_or_b64 exec, exec, s[8:9]
	v_add_f32_e32 v19, v10, v11
	v_sub_f32_e32 v10, v11, v10
	v_add_f32_e32 v11, v17, v18
	v_sub_f32_e32 v17, v18, v17
	v_add_f32_e32 v18, v8, v9
	v_sub_f32_e32 v8, v9, v8
	v_add_f32_e32 v9, v15, v16
	v_sub_f32_e32 v15, v16, v15
	v_add_f32_e32 v16, v6, v7
	v_sub_f32_e32 v6, v7, v6
	v_add_f32_e32 v7, v13, v14
	v_sub_f32_e32 v13, v14, v13
	v_add_f32_e32 v14, v4, v5
	v_sub_f32_e32 v4, v5, v4
	v_add_f32_e32 v5, v3, v12
	v_sub_f32_e32 v3, v12, v3
	v_add_f32_e32 v12, v18, v19
	v_sub_f32_e32 v18, v19, v18
	v_add_f32_e32 v19, v9, v11
	v_sub_f32_e32 v9, v11, v9
	v_add_f32_e32 v11, v8, v10
	v_sub_f32_e32 v8, v10, v8
	v_add_f32_e32 v10, v15, v17
	v_sub_f32_e32 v15, v17, v15
	v_add_f32_e32 v17, v14, v16
	v_sub_f32_e32 v14, v16, v14
	v_add_f32_e32 v16, v5, v7
	v_sub_f32_e32 v5, v7, v5
	v_add_f32_e32 v7, v4, v6
	v_sub_f32_e32 v4, v6, v4
	v_add_f32_e32 v6, v3, v13
	v_sub_f32_e32 v3, v13, v3
	v_add_f32_e32 v13, v17, v12
	v_sub_f32_e32 v12, v12, v17
	v_add_f32_e32 v17, v16, v19
	v_sub_f32_e32 v16, v19, v16
	v_add_f32_e32 v19, v7, v11
	v_sub_f32_e32 v7, v11, v7
	v_add_f32_e32 v11, v6, v10
	v_sub_f32_e32 v6, v10, v6
	v_add_f32_e32 v10, v14, v18
	v_sub_f32_e32 v14, v18, v14
	v_add_f32_e32 v18, v5, v9
	v_sub_f32_e32 v5, v9, v5
	v_add_f32_e32 v9, v4, v8
	v_sub_f32_e32 v4, v8, v4
	v_add_f32_e32 v8, v3, v15
	v_sub_f32_e32 v3, v15, v3
	v_mbcnt_lo_u32_b32 v15, -1, 0
	v_mbcnt_hi_u32_b32 v15, -1, v15
	v_and_b32_e32 v20, 64, v15
	v_add_u32_e32 v20, 64, v20
	v_xor_b32_e32 v21, 1, v15
	v_cmp_lt_i32_e64 s[2:3], v21, v20
	v_cndmask_b32_e64 v21, v15, v21, s[2:3]
	v_lshlrev_b32_e32 v21, 2, v21
	ds_bpermute_b32 v22, v21, v13
	v_and_b32_e32 v23, 1, v0
	v_cmp_eq_u32_e64 s[2:3], 0, v23
	v_cndmask_b32_e64 v13, -v13, v13, s[2:3]
	ds_bpermute_b32 v23, v21, v9
	s_waitcnt lgkmcnt(1)
	v_add_f32_e32 v13, v13, v22
	ds_bpermute_b32 v22, v21, v10
	v_cndmask_b32_e64 v10, -v10, v10, s[2:3]
	v_cndmask_b32_e64 v9, -v9, v9, s[2:3]
	s_waitcnt lgkmcnt(1)
	v_add_f32_e32 v9, v9, v23
	ds_bpermute_b32 v23, v21, v7
	s_waitcnt lgkmcnt(1)
	v_add_f32_e32 v10, v10, v22
	ds_bpermute_b32 v22, v21, v12
	v_cndmask_b32_e64 v12, -v12, v12, s[2:3]
	v_cndmask_b32_e64 v7, -v7, v7, s[2:3]
	ds_bpermute_b32 v24, v21, v19
	s_waitcnt lgkmcnt(2)
	v_add_f32_e32 v23, v7, v23
	s_waitcnt lgkmcnt(1)
	v_add_f32_e32 v12, v12, v22
	ds_bpermute_b32 v22, v21, v14
	ds_bpermute_b32 v7, v21, v4
	v_cndmask_b32_e64 v19, -v19, v19, s[2:3]
	v_cndmask_b32_e64 v14, -v14, v14, s[2:3]
	;; [unrolled: 1-line block ×3, first 2 shown]
	s_waitcnt lgkmcnt(2)
	v_add_f32_e32 v19, v19, v24
	s_waitcnt lgkmcnt(1)
	v_add_f32_e32 v14, v14, v22
	ds_bpermute_b32 v22, v21, v17
	s_waitcnt lgkmcnt(1)
	v_add_f32_e32 v24, v4, v7
	v_cndmask_b32_e64 v7, -v17, v17, s[2:3]
	ds_bpermute_b32 v17, v21, v18
	ds_bpermute_b32 v4, v21, v11
	v_cndmask_b32_e64 v18, -v18, v18, s[2:3]
	s_waitcnt lgkmcnt(2)
	v_add_f32_e32 v7, v7, v22
	v_cndmask_b32_e64 v11, -v11, v11, s[2:3]
	s_waitcnt lgkmcnt(1)
	v_add_f32_e32 v17, v18, v17
	ds_bpermute_b32 v18, v21, v16
	ds_bpermute_b32 v22, v21, v5
	s_waitcnt lgkmcnt(2)
	v_add_f32_e32 v4, v11, v4
	ds_bpermute_b32 v11, v21, v8
	v_cndmask_b32_e64 v16, -v16, v16, s[2:3]
	v_cndmask_b32_e64 v5, -v5, v5, s[2:3]
	;; [unrolled: 1-line block ×3, first 2 shown]
	s_waitcnt lgkmcnt(2)
	v_add_f32_e32 v16, v16, v18
	s_waitcnt lgkmcnt(1)
	v_add_f32_e32 v18, v5, v22
	v_xor_b32_e32 v5, 2, v15
	s_waitcnt lgkmcnt(0)
	v_add_f32_e32 v8, v8, v11
	ds_bpermute_b32 v11, v21, v6
	v_cmp_lt_i32_e64 s[8:9], v5, v20
	v_cndmask_b32_e64 v5, v15, v5, s[8:9]
	v_lshlrev_b32_e32 v22, 2, v5
	ds_bpermute_b32 v5, v22, v13
	v_cndmask_b32_e64 v6, -v6, v6, s[2:3]
	s_waitcnt lgkmcnt(1)
	v_add_f32_e32 v11, v6, v11
	ds_bpermute_b32 v6, v21, v3
	v_and_b32_e32 v21, 2, v0
	v_cmp_eq_u32_e64 s[12:13], 0, v21
	v_cndmask_b32_e64 v13, -v13, v13, s[12:13]
	s_waitcnt lgkmcnt(1)
	v_add_f32_e32 v5, v13, v5
	v_xor_b32_e32 v13, 4, v15
	v_cmp_lt_i32_e64 s[8:9], v13, v20
	v_cndmask_b32_e64 v13, v15, v13, s[8:9]
	v_lshlrev_b32_e32 v13, 2, v13
	ds_bpermute_b32 v21, v13, v5
	v_and_b32_e32 v25, 4, v0
	v_cmp_eq_u32_e64 s[8:9], 0, v25
	v_cndmask_b32_e64 v5, -v5, v5, s[8:9]
	v_cndmask_b32_e64 v3, -v3, v3, s[2:3]
	s_waitcnt lgkmcnt(0)
	v_add_f32_e32 v5, v5, v21
	v_xor_b32_e32 v21, 8, v15
	v_cmp_lt_i32_e64 s[2:3], v21, v20
	v_cndmask_b32_e64 v21, v15, v21, s[2:3]
	v_lshlrev_b32_e32 v21, 2, v21
	ds_bpermute_b32 v25, v21, v5
	v_add_f32_e32 v26, v3, v6
	v_and_b32_e32 v3, 8, v0
	v_cmp_eq_u32_e64 s[2:3], 0, v3
	ds_bpermute_b32 v6, v22, v9
	v_cndmask_b32_e64 v3, -v5, v5, s[2:3]
	s_waitcnt lgkmcnt(1)
	v_add_f32_e32 v5, v3, v25
	v_xor_b32_e32 v3, 16, v15
	v_cmp_lt_i32_e64 s[10:11], v3, v20
	v_cndmask_b32_e64 v3, v15, v3, s[10:11]
	ds_bpermute_b32 v15, v22, v10
	v_cndmask_b32_e64 v9, -v9, v9, s[12:13]
	s_waitcnt lgkmcnt(1)
	v_add_f32_e32 v6, v9, v6
	ds_bpermute_b32 v9, v22, v19
	v_cndmask_b32_e64 v10, -v10, v10, s[12:13]
	s_waitcnt lgkmcnt(1)
	v_add_f32_e32 v10, v10, v15
	;; [unrolled: 4-line block ×19, first 2 shown]
	ds_bpermute_b32 v19, v21, v7
	v_cndmask_b32_e64 v4, -v4, v4, s[2:3]
	v_lshlrev_b32_e32 v20, 2, v3
	v_and_b32_e32 v0, 16, v0
	s_waitcnt lgkmcnt(1)
	v_add_f32_e32 v17, v4, v17
	v_cndmask_b32_e64 v4, -v7, v7, s[2:3]
	ds_bpermute_b32 v3, v20, v6
	s_waitcnt lgkmcnt(1)
	v_add_f32_e32 v19, v4, v19
	ds_bpermute_b32 v4, v20, v10
	v_cmp_eq_u32_e64 s[10:11], 0, v0
	ds_bpermute_b32 v7, v20, v5
	v_cndmask_b32_e64 v0, -v6, v6, s[10:11]
	ds_bpermute_b32 v6, v20, v9
	s_waitcnt lgkmcnt(3)
	v_add_f32_e32 v0, v0, v3
	v_cndmask_b32_e64 v3, -v10, v10, s[10:11]
	v_cndmask_b32_e64 v5, -v5, v5, s[10:11]
	s_waitcnt lgkmcnt(2)
	v_add_f32_e32 v3, v3, v4
	v_cndmask_b32_e64 v4, -v9, v9, s[10:11]
	s_waitcnt lgkmcnt(1)
	v_add_f32_e32 v5, v5, v7
	ds_bpermute_b32 v7, v20, v15
	s_waitcnt lgkmcnt(1)
	v_add_f32_e32 v4, v4, v6
	ds_bpermute_b32 v6, v20, v8
	v_cndmask_b32_e64 v9, -v15, v15, s[10:11]
	v_cndmask_b32_e64 v8, -v8, v8, s[10:11]
	s_waitcnt lgkmcnt(1)
	v_add_f32_e32 v7, v9, v7
	ds_bpermute_b32 v9, v20, v19
	s_waitcnt lgkmcnt(1)
	v_add_f32_e32 v6, v8, v6
	ds_bpermute_b32 v8, v20, v17
	v_cndmask_b32_e64 v15, -v19, v19, s[10:11]
	;; [unrolled: 8-line block ×5, first 2 shown]
	v_cndmask_b32_e64 v23, -v26, v26, s[12:13]
	s_waitcnt lgkmcnt(1)
	v_add_f32_e32 v15, v18, v15
	ds_bpermute_b32 v18, v22, v16
	s_waitcnt lgkmcnt(1)
	v_add_f32_e32 v19, v23, v19
	ds_bpermute_b32 v23, v22, v11
	ds_bpermute_b32 v22, v13, v10
	v_cndmask_b32_e64 v16, -v16, v16, s[12:13]
	s_waitcnt lgkmcnt(2)
	v_add_f32_e32 v16, v16, v18
	ds_bpermute_b32 v18, v13, v14
	v_cndmask_b32_e64 v10, -v10, v10, s[8:9]
	s_waitcnt lgkmcnt(1)
	v_add_f32_e32 v10, v10, v22
	;; [unrolled: 4-line block ×4, first 2 shown]
	ds_bpermute_b32 v22, v13, v19
	v_cndmask_b32_e64 v11, -v11, v11, s[12:13]
	v_cndmask_b32_e64 v12, -v12, v12, s[8:9]
	v_add_f32_e32 v11, v11, v23
	s_waitcnt lgkmcnt(1)
	v_add_f32_e32 v12, v12, v18
	ds_bpermute_b32 v18, v13, v15
	v_cndmask_b32_e64 v19, -v19, v19, s[8:9]
	s_waitcnt lgkmcnt(1)
	v_add_f32_e32 v19, v19, v22
	ds_bpermute_b32 v22, v13, v11
	ds_bpermute_b32 v13, v13, v16
	v_cndmask_b32_e64 v15, -v15, v15, s[8:9]
	s_waitcnt lgkmcnt(2)
	v_add_f32_e32 v15, v15, v18
	ds_bpermute_b32 v18, v21, v10
	v_cndmask_b32_e64 v16, -v16, v16, s[8:9]
	s_waitcnt lgkmcnt(1)
	v_add_f32_e32 v13, v16, v13
	;; [unrolled: 4-line block ×6, first 2 shown]
	ds_bpermute_b32 v12, v21, v15
	v_cndmask_b32_e64 v11, -v11, v11, s[8:9]
	v_add_f32_e32 v11, v11, v22
	v_cndmask_b32_e64 v19, -v19, v19, s[2:3]
	s_waitcnt lgkmcnt(1)
	v_add_f32_e32 v18, v19, v18
	ds_bpermute_b32 v19, v21, v11
	v_cndmask_b32_e64 v15, -v15, v15, s[2:3]
	s_waitcnt lgkmcnt(1)
	v_add_f32_e32 v15, v15, v12
	ds_bpermute_b32 v12, v21, v13
	;; [unrolled: 4-line block ×4, first 2 shown]
	v_cndmask_b32_e64 v10, -v10, v10, s[10:11]
	ds_bpermute_b32 v13, v20, v17
	s_waitcnt lgkmcnt(2)
	v_add_f32_e32 v10, v10, v11
	v_cndmask_b32_e64 v11, -v14, v14, s[10:11]
	ds_bpermute_b32 v14, v20, v16
	s_waitcnt lgkmcnt(2)
	v_add_f32_e32 v11, v11, v12
	;; [unrolled: 4-line block ×3, first 2 shown]
	v_cndmask_b32_e64 v13, -v16, v16, s[10:11]
	s_waitcnt lgkmcnt(1)
	v_add_f32_e32 v13, v13, v14
	v_cndmask_b32_e64 v14, -v18, v18, s[10:11]
	ds_bpermute_b32 v16, v20, v15
	s_waitcnt lgkmcnt(1)
	v_add_f32_e32 v14, v14, v17
	ds_bpermute_b32 v17, v20, v19
	ds_bpermute_b32 v18, v20, v21
	s_mul_i32 s2, s18, s7
	s_mul_hi_u32 s3, s18, s6
	s_load_dword s8, s[4:5], 0x20
	s_add_i32 s2, s3, s2
	s_mul_i32 s3, s19, s6
	v_cndmask_b32_e64 v15, -v15, v15, s[10:11]
	s_add_i32 s3, s2, s3
	s_mul_i32 s2, s18, s6
	s_waitcnt lgkmcnt(0)
	v_add_f32_e32 v15, v15, v16
	v_cndmask_b32_e64 v16, -v19, v19, s[10:11]
	s_lshl_b64 s[2:3], s[2:3], 1
	v_add_f32_e32 v16, v16, v17
	v_cndmask_b32_e64 v17, -v21, v21, s[10:11]
	s_add_u32 s2, s14, s2
	v_add_f32_e32 v17, v17, v18
	s_addc_u32 s3, s15, s3
	s_and_saveexec_b64 s[4:5], s[0:1]
	s_cbranch_execnz .LBB32_7
; %bb.5:
	s_or_b64 exec, exec, s[4:5]
	s_and_saveexec_b64 s[0:1], vcc
	s_cbranch_execnz .LBB32_8
.LBB32_6:
	s_endpgm
.LBB32_7:
	v_add_f32_e32 v18, v10, v14
	v_mul_f32_e32 v18, s8, v18
	v_add_f32_e32 v19, v11, v15
	v_bfe_u32 v23, v18, 16, 1
	s_movk_i32 s6, 0x7fff
	v_add3_u32 v23, v23, v18, s6
	v_or_b32_e32 v24, 0x400000, v18
	v_cmp_u_f32_e64 s[0:1], v18, v18
	v_mul_f32_e32 v19, s8, v19
	v_add_f32_e32 v20, v12, v16
	v_cndmask_b32_e64 v18, v23, v24, s[0:1]
	v_bfe_u32 v23, v19, 16, 1
	v_add3_u32 v23, v23, v19, s6
	v_or_b32_e32 v24, 0x400000, v19
	v_cmp_u_f32_e64 s[0:1], v19, v19
	v_mul_f32_e32 v20, s8, v20
	v_add_f32_e32 v21, v13, v17
	v_cndmask_b32_e64 v19, v23, v24, s[0:1]
	v_bfe_u32 v23, v20, 16, 1
	v_add_f32_e32 v22, v0, v6
	v_add3_u32 v23, v23, v20, s6
	v_or_b32_e32 v24, 0x400000, v20
	v_cmp_u_f32_e64 s[0:1], v20, v20
	v_mul_f32_e32 v21, s8, v21
	v_cndmask_b32_e64 v20, v23, v24, s[0:1]
	v_bfe_u32 v23, v21, 16, 1
	v_mul_f32_e32 v22, s8, v22
	s_mov_b32 s7, 0x7060302
	v_add3_u32 v23, v23, v21, s6
	v_or_b32_e32 v24, 0x400000, v21
	v_cmp_u_f32_e64 s[0:1], v21, v21
	v_perm_b32 v21, v18, v19, s7
	v_bfe_u32 v18, v22, 16, 1
	v_cndmask_b32_e64 v23, v23, v24, s[0:1]
	v_add3_u32 v18, v18, v22, s6
	v_or_b32_e32 v19, 0x400000, v22
	v_cmp_u_f32_e64 s[0:1], v22, v22
	v_add_f32_e32 v22, v3, v7
	v_cndmask_b32_e64 v18, v18, v19, s[0:1]
	v_mul_f32_e32 v19, s8, v22
	v_bfe_u32 v22, v19, 16, 1
	v_perm_b32 v20, v20, v23, s7
	v_add3_u32 v22, v22, v19, s6
	v_or_b32_e32 v23, 0x400000, v19
	v_cmp_u_f32_e64 s[0:1], v19, v19
	v_cndmask_b32_e64 v19, v22, v23, s[0:1]
	v_add_f32_e32 v22, v4, v8
	v_mul_f32_e32 v22, s8, v22
	v_perm_b32 v19, v18, v19, s7
	v_bfe_u32 v18, v22, 16, 1
	v_add3_u32 v18, v18, v22, s6
	v_or_b32_e32 v23, 0x400000, v22
	v_cmp_u_f32_e64 s[0:1], v22, v22
	v_add_f32_e32 v22, v5, v9
	v_mul_f32_e32 v22, s8, v22
	v_cndmask_b32_e64 v18, v18, v23, s[0:1]
	v_bfe_u32 v23, v22, 16, 1
	v_add3_u32 v23, v23, v22, s6
	v_or_b32_e32 v24, 0x400000, v22
	v_cmp_u_f32_e64 s[0:1], v22, v22
	v_cndmask_b32_e64 v22, v23, v24, s[0:1]
	v_perm_b32 v18, v18, v22, s7
	global_store_dwordx4 v2, v[18:21], s[2:3]
	s_or_b64 exec, exec, s[4:5]
	s_and_saveexec_b64 s[0:1], vcc
	s_cbranch_execz .LBB32_6
.LBB32_8:
	v_sub_f32_e32 v2, v5, v9
	v_mul_f32_e32 v2, s8, v2
	v_sub_f32_e32 v4, v4, v8
	v_bfe_u32 v5, v2, 16, 1
	s_movk_i32 s0, 0x7fff
	v_sub_f32_e32 v3, v3, v7
	v_sub_f32_e32 v0, v0, v6
	v_mul_f32_e32 v4, s8, v4
	v_add3_u32 v5, v5, v2, s0
	v_or_b32_e32 v6, 0x400000, v2
	v_cmp_u_f32_e32 vcc, v2, v2
	v_mul_f32_e32 v3, s8, v3
	v_cndmask_b32_e32 v2, v5, v6, vcc
	v_bfe_u32 v5, v4, 16, 1
	v_add3_u32 v5, v5, v4, s0
	v_or_b32_e32 v6, 0x400000, v4
	v_cmp_u_f32_e32 vcc, v4, v4
	v_bfe_u32 v4, v3, 16, 1
	v_mul_f32_e32 v0, s8, v0
	v_cndmask_b32_e32 v6, v5, v6, vcc
	v_add3_u32 v4, v4, v3, s0
	v_or_b32_e32 v5, 0x400000, v3
	v_cmp_u_f32_e32 vcc, v3, v3
	v_cndmask_b32_e32 v3, v4, v5, vcc
	v_bfe_u32 v4, v0, 16, 1
	v_add3_u32 v4, v4, v0, s0
	v_or_b32_e32 v5, 0x400000, v0
	v_cmp_u_f32_e32 vcc, v0, v0
	v_cndmask_b32_e32 v0, v4, v5, vcc
	v_sub_f32_e32 v4, v13, v17
	v_mul_f32_e32 v4, s8, v4
	v_sub_f32_e32 v5, v12, v16
	v_bfe_u32 v9, v4, 16, 1
	v_sub_f32_e32 v7, v11, v15
	v_sub_f32_e32 v8, v10, v14
	v_mul_f32_e32 v5, s8, v5
	v_add3_u32 v9, v9, v4, s0
	v_or_b32_e32 v10, 0x400000, v4
	v_cmp_u_f32_e32 vcc, v4, v4
	v_mul_f32_e32 v7, s8, v7
	v_cndmask_b32_e32 v4, v9, v10, vcc
	v_bfe_u32 v9, v5, 16, 1
	v_mul_f32_e32 v8, s8, v8
	v_add3_u32 v9, v9, v5, s0
	v_or_b32_e32 v10, 0x400000, v5
	v_cmp_u_f32_e32 vcc, v5, v5
	v_bfe_u32 v5, v7, 16, 1
	v_cndmask_b32_e32 v9, v9, v10, vcc
	v_add3_u32 v5, v5, v7, s0
	v_or_b32_e32 v10, 0x400000, v7
	v_cmp_u_f32_e32 vcc, v7, v7
	v_bfe_u32 v7, v8, 16, 1
	v_cndmask_b32_e32 v5, v5, v10, vcc
	v_add3_u32 v7, v7, v8, s0
	v_or_b32_e32 v10, 0x400000, v8
	v_cmp_u_f32_e32 vcc, v8, v8
	v_cndmask_b32_e32 v7, v7, v10, vcc
	s_mov_b32 s0, 0x7060302
	v_perm_b32 v5, v7, v5, s0
	v_perm_b32 v4, v9, v4, s0
	;; [unrolled: 1-line block ×4, first 2 shown]
	global_store_dwordx4 v1, v[2:5], s[2:3]
	s_endpgm
	.section	.rodata,"a",@progbits
	.p2align	6, 0x0
	.amdhsa_kernel _Z30fast_hadamard_transform_kernelI37fast_hadamard_transform_kernel_traitsILi32ELi9E14__hip_bfloat16EEv18HadamardParamsBase
		.amdhsa_group_segment_fixed_size 0
		.amdhsa_private_segment_fixed_size 0
		.amdhsa_kernarg_size 312
		.amdhsa_user_sgpr_count 6
		.amdhsa_user_sgpr_private_segment_buffer 1
		.amdhsa_user_sgpr_dispatch_ptr 0
		.amdhsa_user_sgpr_queue_ptr 0
		.amdhsa_user_sgpr_kernarg_segment_ptr 1
		.amdhsa_user_sgpr_dispatch_id 0
		.amdhsa_user_sgpr_flat_scratch_init 0
		.amdhsa_user_sgpr_private_segment_size 0
		.amdhsa_uses_dynamic_stack 0
		.amdhsa_system_sgpr_private_segment_wavefront_offset 0
		.amdhsa_system_sgpr_workgroup_id_x 1
		.amdhsa_system_sgpr_workgroup_id_y 0
		.amdhsa_system_sgpr_workgroup_id_z 0
		.amdhsa_system_sgpr_workgroup_info 0
		.amdhsa_system_vgpr_workitem_id 0
		.amdhsa_next_free_vgpr 27
		.amdhsa_next_free_sgpr 20
		.amdhsa_reserve_vcc 1
		.amdhsa_reserve_flat_scratch 0
		.amdhsa_float_round_mode_32 0
		.amdhsa_float_round_mode_16_64 0
		.amdhsa_float_denorm_mode_32 3
		.amdhsa_float_denorm_mode_16_64 3
		.amdhsa_dx10_clamp 1
		.amdhsa_ieee_mode 1
		.amdhsa_fp16_overflow 0
		.amdhsa_exception_fp_ieee_invalid_op 0
		.amdhsa_exception_fp_denorm_src 0
		.amdhsa_exception_fp_ieee_div_zero 0
		.amdhsa_exception_fp_ieee_overflow 0
		.amdhsa_exception_fp_ieee_underflow 0
		.amdhsa_exception_fp_ieee_inexact 0
		.amdhsa_exception_int_div_zero 0
	.end_amdhsa_kernel
	.section	.text._Z30fast_hadamard_transform_kernelI37fast_hadamard_transform_kernel_traitsILi32ELi9E14__hip_bfloat16EEv18HadamardParamsBase,"axG",@progbits,_Z30fast_hadamard_transform_kernelI37fast_hadamard_transform_kernel_traitsILi32ELi9E14__hip_bfloat16EEv18HadamardParamsBase,comdat
.Lfunc_end32:
	.size	_Z30fast_hadamard_transform_kernelI37fast_hadamard_transform_kernel_traitsILi32ELi9E14__hip_bfloat16EEv18HadamardParamsBase, .Lfunc_end32-_Z30fast_hadamard_transform_kernelI37fast_hadamard_transform_kernel_traitsILi32ELi9E14__hip_bfloat16EEv18HadamardParamsBase
                                        ; -- End function
	.set _Z30fast_hadamard_transform_kernelI37fast_hadamard_transform_kernel_traitsILi32ELi9E14__hip_bfloat16EEv18HadamardParamsBase.num_vgpr, 27
	.set _Z30fast_hadamard_transform_kernelI37fast_hadamard_transform_kernel_traitsILi32ELi9E14__hip_bfloat16EEv18HadamardParamsBase.num_agpr, 0
	.set _Z30fast_hadamard_transform_kernelI37fast_hadamard_transform_kernel_traitsILi32ELi9E14__hip_bfloat16EEv18HadamardParamsBase.numbered_sgpr, 20
	.set _Z30fast_hadamard_transform_kernelI37fast_hadamard_transform_kernel_traitsILi32ELi9E14__hip_bfloat16EEv18HadamardParamsBase.num_named_barrier, 0
	.set _Z30fast_hadamard_transform_kernelI37fast_hadamard_transform_kernel_traitsILi32ELi9E14__hip_bfloat16EEv18HadamardParamsBase.private_seg_size, 0
	.set _Z30fast_hadamard_transform_kernelI37fast_hadamard_transform_kernel_traitsILi32ELi9E14__hip_bfloat16EEv18HadamardParamsBase.uses_vcc, 1
	.set _Z30fast_hadamard_transform_kernelI37fast_hadamard_transform_kernel_traitsILi32ELi9E14__hip_bfloat16EEv18HadamardParamsBase.uses_flat_scratch, 0
	.set _Z30fast_hadamard_transform_kernelI37fast_hadamard_transform_kernel_traitsILi32ELi9E14__hip_bfloat16EEv18HadamardParamsBase.has_dyn_sized_stack, 0
	.set _Z30fast_hadamard_transform_kernelI37fast_hadamard_transform_kernel_traitsILi32ELi9E14__hip_bfloat16EEv18HadamardParamsBase.has_recursion, 0
	.set _Z30fast_hadamard_transform_kernelI37fast_hadamard_transform_kernel_traitsILi32ELi9E14__hip_bfloat16EEv18HadamardParamsBase.has_indirect_call, 0
	.section	.AMDGPU.csdata,"",@progbits
; Kernel info:
; codeLenInByte = 3512
; TotalNumSgprs: 24
; NumVgprs: 27
; ScratchSize: 0
; MemoryBound: 0
; FloatMode: 240
; IeeeMode: 1
; LDSByteSize: 0 bytes/workgroup (compile time only)
; SGPRBlocks: 2
; VGPRBlocks: 6
; NumSGPRsForWavesPerEU: 24
; NumVGPRsForWavesPerEU: 27
; Occupancy: 9
; WaveLimiterHint : 0
; COMPUTE_PGM_RSRC2:SCRATCH_EN: 0
; COMPUTE_PGM_RSRC2:USER_SGPR: 6
; COMPUTE_PGM_RSRC2:TRAP_HANDLER: 0
; COMPUTE_PGM_RSRC2:TGID_X_EN: 1
; COMPUTE_PGM_RSRC2:TGID_Y_EN: 0
; COMPUTE_PGM_RSRC2:TGID_Z_EN: 0
; COMPUTE_PGM_RSRC2:TIDIG_COMP_CNT: 0
	.section	.text._Z30fast_hadamard_transform_kernelI37fast_hadamard_transform_kernel_traitsILi128ELi10E14__hip_bfloat16EEv18HadamardParamsBase,"axG",@progbits,_Z30fast_hadamard_transform_kernelI37fast_hadamard_transform_kernel_traitsILi128ELi10E14__hip_bfloat16EEv18HadamardParamsBase,comdat
	.protected	_Z30fast_hadamard_transform_kernelI37fast_hadamard_transform_kernel_traitsILi128ELi10E14__hip_bfloat16EEv18HadamardParamsBase ; -- Begin function _Z30fast_hadamard_transform_kernelI37fast_hadamard_transform_kernel_traitsILi128ELi10E14__hip_bfloat16EEv18HadamardParamsBase
	.globl	_Z30fast_hadamard_transform_kernelI37fast_hadamard_transform_kernel_traitsILi128ELi10E14__hip_bfloat16EEv18HadamardParamsBase
	.p2align	8
	.type	_Z30fast_hadamard_transform_kernelI37fast_hadamard_transform_kernel_traitsILi128ELi10E14__hip_bfloat16EEv18HadamardParamsBase,@function
_Z30fast_hadamard_transform_kernelI37fast_hadamard_transform_kernel_traitsILi128ELi10E14__hip_bfloat16EEv18HadamardParamsBase: ; @_Z30fast_hadamard_transform_kernelI37fast_hadamard_transform_kernel_traitsILi128ELi10E14__hip_bfloat16EEv18HadamardParamsBase
; %bb.0:
	s_load_dword s0, s[4:5], 0x4
	v_lshlrev_b32_e32 v1, 3, v0
	s_ashr_i32 s7, s6, 31
	v_mov_b32_e32 v2, 0
	v_mov_b32_e32 v3, 0
	s_waitcnt lgkmcnt(0)
	v_cmp_gt_u32_e32 vcc, s0, v1
	v_lshlrev_b32_e32 v1, 4, v0
	v_mov_b32_e32 v4, 0
	v_mov_b32_e32 v5, 0
	;; [unrolled: 1-line block ×6, first 2 shown]
	s_and_saveexec_b64 s[0:1], vcc
	s_cbranch_execz .LBB33_2
; %bb.1:
	s_load_dwordx2 s[2:3], s[4:5], 0x10
	s_load_dwordx2 s[8:9], s[4:5], 0x28
	s_waitcnt lgkmcnt(0)
	s_mul_i32 s10, s2, s7
	s_mul_hi_u32 s11, s2, s6
	s_mul_i32 s3, s3, s6
	s_add_i32 s10, s11, s10
	s_mul_i32 s2, s2, s6
	s_add_i32 s3, s10, s3
	s_lshl_b64 s[2:3], s[2:3], 1
	s_add_u32 s2, s8, s2
	s_addc_u32 s3, s9, s3
	global_load_dwordx4 v[10:13], v1, s[2:3]
	s_waitcnt vmcnt(0)
	v_lshlrev_b32_e32 v9, 16, v10
	v_and_b32_e32 v8, 0xffff0000, v10
	v_lshlrev_b32_e32 v7, 16, v11
	v_and_b32_e32 v6, 0xffff0000, v11
	;; [unrolled: 2-line block ×4, first 2 shown]
.LBB33_2:
	s_or_b64 exec, exec, s[0:1]
	v_add_f32_e32 v10, v8, v9
	v_sub_f32_e32 v8, v9, v8
	v_add_f32_e32 v9, v6, v7
	v_sub_f32_e32 v6, v7, v6
	;; [unrolled: 2-line block ×12, first 2 shown]
	v_mbcnt_lo_u32_b32 v6, -1, 0
	v_mbcnt_hi_u32_b32 v6, -1, v6
	v_and_b32_e32 v11, 64, v6
	v_add_u32_e32 v11, 64, v11
	v_xor_b32_e32 v12, 1, v6
	v_cmp_lt_i32_e64 s[0:1], v12, v11
	v_cndmask_b32_e64 v12, v6, v12, s[0:1]
	v_lshlrev_b32_e32 v12, 2, v12
	ds_bpermute_b32 v13, v12, v4
	v_and_b32_e32 v14, 1, v0
	v_cmp_eq_u32_e64 s[0:1], 0, v14
	v_cndmask_b32_e64 v4, -v4, v4, s[0:1]
	ds_bpermute_b32 v15, v12, v8
	s_waitcnt lgkmcnt(1)
	v_add_f32_e32 v4, v4, v13
	ds_bpermute_b32 v13, v12, v10
	v_cndmask_b32_e64 v10, -v10, v10, s[0:1]
	v_cndmask_b32_e64 v8, -v8, v8, s[0:1]
	s_waitcnt lgkmcnt(1)
	v_add_f32_e32 v8, v8, v15
	ds_bpermute_b32 v15, v12, v9
	s_waitcnt lgkmcnt(1)
	v_add_f32_e32 v10, v10, v13
	ds_bpermute_b32 v13, v12, v3
	v_cndmask_b32_e64 v3, -v3, v3, s[0:1]
	v_cndmask_b32_e64 v9, -v9, v9, s[0:1]
	s_waitcnt lgkmcnt(1)
	v_add_f32_e32 v9, v9, v15
	ds_bpermute_b32 v15, v12, v7
	s_waitcnt lgkmcnt(1)
	v_add_f32_e32 v3, v3, v13
	ds_bpermute_b32 v13, v12, v5
	v_cndmask_b32_e64 v5, -v5, v5, s[0:1]
	ds_bpermute_b32 v16, v12, v2
	v_cndmask_b32_e64 v7, -v7, v7, s[0:1]
	s_waitcnt lgkmcnt(2)
	v_add_f32_e32 v7, v7, v15
	s_waitcnt lgkmcnt(1)
	v_add_f32_e32 v5, v5, v13
	v_xor_b32_e32 v13, 2, v6
	v_cmp_lt_i32_e64 s[2:3], v13, v11
	v_cndmask_b32_e64 v13, v6, v13, s[2:3]
	v_lshlrev_b32_e32 v13, 2, v13
	ds_bpermute_b32 v15, v13, v4
	v_cndmask_b32_e64 v2, -v2, v2, s[0:1]
	s_waitcnt lgkmcnt(1)
	v_add_f32_e32 v2, v2, v16
	v_and_b32_e32 v16, 2, v0
	v_cmp_eq_u32_e64 s[2:3], 0, v16
	v_cndmask_b32_e64 v4, -v4, v4, s[2:3]
	s_waitcnt lgkmcnt(0)
	v_add_f32_e32 v4, v4, v15
	ds_bpermute_b32 v15, v13, v10
	v_cndmask_b32_e64 v10, -v10, v10, s[2:3]
	ds_bpermute_b32 v16, v13, v9
	v_cndmask_b32_e64 v9, -v9, v9, s[2:3]
	ds_bpermute_b32 v17, v13, v8
	s_waitcnt lgkmcnt(2)
	v_add_f32_e32 v10, v10, v15
	ds_bpermute_b32 v15, v13, v3
	v_cndmask_b32_e64 v3, -v3, v3, s[2:3]
	s_waitcnt lgkmcnt(2)
	v_add_f32_e32 v9, v9, v16
	ds_bpermute_b32 v16, v13, v7
	v_cndmask_b32_e64 v8, -v8, v8, s[2:3]
	s_waitcnt lgkmcnt(1)
	v_add_f32_e32 v3, v3, v15
	ds_bpermute_b32 v15, v13, v5
	ds_bpermute_b32 v13, v13, v2
	v_cndmask_b32_e64 v2, -v2, v2, s[2:3]
	v_cndmask_b32_e64 v7, -v7, v7, s[2:3]
	;; [unrolled: 1-line block ×3, first 2 shown]
	s_waitcnt lgkmcnt(1)
	v_add_f32_e32 v5, v5, v15
	s_waitcnt lgkmcnt(0)
	v_add_f32_e32 v2, v2, v13
	v_xor_b32_e32 v13, 4, v6
	v_cmp_lt_i32_e64 s[2:3], v13, v11
	v_cndmask_b32_e64 v13, v6, v13, s[2:3]
	v_lshlrev_b32_e32 v13, 2, v13
	ds_bpermute_b32 v15, v13, v4
	v_add_f32_e32 v7, v7, v16
	v_and_b32_e32 v16, 4, v0
	v_cmp_eq_u32_e64 s[2:3], 0, v16
	v_cndmask_b32_e64 v4, -v4, v4, s[2:3]
	s_waitcnt lgkmcnt(0)
	v_add_f32_e32 v4, v4, v15
	ds_bpermute_b32 v15, v13, v10
	v_cndmask_b32_e64 v10, -v10, v10, s[2:3]
	ds_bpermute_b32 v16, v13, v9
	v_add_f32_e32 v8, v8, v17
	v_cndmask_b32_e64 v9, -v9, v9, s[2:3]
	s_waitcnt lgkmcnt(1)
	v_add_f32_e32 v10, v10, v15
	ds_bpermute_b32 v15, v13, v3
	v_cndmask_b32_e64 v3, -v3, v3, s[2:3]
	ds_bpermute_b32 v17, v13, v8
	s_waitcnt lgkmcnt(2)
	v_add_f32_e32 v9, v9, v16
	ds_bpermute_b32 v16, v13, v7
	s_waitcnt lgkmcnt(2)
	v_add_f32_e32 v3, v3, v15
	ds_bpermute_b32 v15, v13, v5
	ds_bpermute_b32 v13, v13, v2
	v_cndmask_b32_e64 v2, -v2, v2, s[2:3]
	v_cndmask_b32_e64 v8, -v8, v8, s[2:3]
	v_cndmask_b32_e64 v7, -v7, v7, s[2:3]
	v_cndmask_b32_e64 v5, -v5, v5, s[2:3]
	s_waitcnt lgkmcnt(0)
	v_add_f32_e32 v2, v2, v13
	v_xor_b32_e32 v13, 8, v6
	v_cmp_lt_i32_e64 s[2:3], v13, v11
	v_cndmask_b32_e64 v13, v6, v13, s[2:3]
	v_lshlrev_b32_e32 v13, 2, v13
	v_add_f32_e32 v5, v5, v15
	ds_bpermute_b32 v15, v13, v4
	v_add_f32_e32 v7, v7, v16
	v_and_b32_e32 v16, 8, v0
	v_cmp_eq_u32_e64 s[2:3], 0, v16
	v_cndmask_b32_e64 v4, -v4, v4, s[2:3]
	s_waitcnt lgkmcnt(0)
	v_add_f32_e32 v4, v4, v15
	ds_bpermute_b32 v15, v13, v10
	v_cndmask_b32_e64 v10, -v10, v10, s[2:3]
	ds_bpermute_b32 v16, v13, v9
	v_add_f32_e32 v8, v8, v17
	v_cndmask_b32_e64 v9, -v9, v9, s[2:3]
	s_waitcnt lgkmcnt(1)
	v_add_f32_e32 v10, v10, v15
	ds_bpermute_b32 v15, v13, v3
	v_cndmask_b32_e64 v3, -v3, v3, s[2:3]
	ds_bpermute_b32 v17, v13, v8
	s_waitcnt lgkmcnt(2)
	v_add_f32_e32 v9, v9, v16
	ds_bpermute_b32 v16, v13, v7
	s_waitcnt lgkmcnt(2)
	v_add_f32_e32 v3, v3, v15
	ds_bpermute_b32 v15, v13, v5
	ds_bpermute_b32 v13, v13, v2
	v_cndmask_b32_e64 v2, -v2, v2, s[2:3]
	v_cndmask_b32_e64 v8, -v8, v8, s[2:3]
	v_cndmask_b32_e64 v7, -v7, v7, s[2:3]
	v_cndmask_b32_e64 v5, -v5, v5, s[2:3]
	s_waitcnt lgkmcnt(0)
	v_add_f32_e32 v2, v2, v13
	v_xor_b32_e32 v13, 16, v6
	v_cmp_lt_i32_e64 s[2:3], v13, v11
	v_cndmask_b32_e64 v13, v6, v13, s[2:3]
	v_lshlrev_b32_e32 v13, 2, v13
	v_add_f32_e32 v5, v5, v15
	;; [unrolled: 35-line block ×3, first 2 shown]
	v_add_f32_e32 v7, v7, v16
	v_add_f32_e32 v16, v5, v3
	ds_bpermute_b32 v2, v11, v4
	v_and_b32_e32 v3, 32, v0
	ds_bpermute_b32 v5, v11, v8
	v_cmp_eq_u32_e64 s[2:3], 0, v3
	v_cndmask_b32_e64 v3, -v4, v4, s[2:3]
	ds_bpermute_b32 v4, v11, v10
	s_waitcnt lgkmcnt(2)
	v_add_f32_e32 v2, v3, v2
	v_cndmask_b32_e64 v3, -v8, v8, s[2:3]
	s_waitcnt lgkmcnt(1)
	v_add_f32_e32 v3, v3, v5
	ds_bpermute_b32 v5, v11, v9
	v_cndmask_b32_e64 v6, -v10, v10, s[2:3]
	s_waitcnt lgkmcnt(1)
	v_add_f32_e32 v4, v6, v4
	ds_bpermute_b32 v6, v11, v15
	v_cndmask_b32_e64 v8, -v9, v9, s[2:3]
	s_waitcnt lgkmcnt(1)
	v_add_f32_e32 v5, v8, v5
	v_cndmask_b32_e64 v8, -v15, v15, s[2:3]
	ds_bpermute_b32 v9, v11, v7
	s_waitcnt lgkmcnt(1)
	v_add_f32_e32 v6, v8, v6
	ds_bpermute_b32 v8, v11, v16
	ds_bpermute_b32 v10, v11, v13
	v_cndmask_b32_e64 v7, -v7, v7, s[2:3]
	s_waitcnt lgkmcnt(2)
	v_add_f32_e32 v7, v7, v9
	v_cndmask_b32_e64 v9, -v16, v16, s[2:3]
	s_waitcnt lgkmcnt(1)
	v_add_f32_e32 v8, v9, v8
	;; [unrolled: 3-line block ×3, first 2 shown]
	v_lshrrev_b32_e32 v10, 6, v0
	v_lshrrev_b32_e32 v11, 1, v0
	v_xor_b32_e32 v0, v10, v0
	v_lshl_or_b32 v10, v14, 6, v11
	v_xor_b32_e32 v10, v10, v14
	v_lshl_add_u32 v0, v0, 4, 0
	v_lshl_add_u32 v10, v10, 4, 0
	s_barrier
	ds_write_b128 v0, v[2:5]
	ds_write_b128 v0, v[6:9] offset:2048
	s_waitcnt lgkmcnt(0)
	s_barrier
	ds_read_b128 v[2:5], v10
	ds_read_b128 v[6:9], v10 offset:2048
	s_waitcnt lgkmcnt(0)
	s_barrier
	ds_bpermute_b32 v11, v12, v2
	v_cndmask_b32_e64 v2, -v2, v2, s[0:1]
	ds_bpermute_b32 v13, v12, v3
	v_cndmask_b32_e64 v3, -v3, v3, s[0:1]
	s_waitcnt lgkmcnt(1)
	v_add_f32_e32 v2, v2, v11
	ds_bpermute_b32 v11, v12, v4
	v_cndmask_b32_e64 v4, -v4, v4, s[0:1]
	s_waitcnt lgkmcnt(1)
	v_add_f32_e32 v3, v3, v13
	;; [unrolled: 4-line block ×5, first 2 shown]
	ds_bpermute_b32 v11, v12, v8
	ds_bpermute_b32 v12, v12, v9
	v_cndmask_b32_e64 v8, -v8, v8, s[0:1]
	v_cndmask_b32_e64 v9, -v9, v9, s[0:1]
	s_waitcnt lgkmcnt(2)
	v_add_f32_e32 v7, v7, v13
	s_waitcnt lgkmcnt(1)
	v_add_f32_e32 v8, v8, v11
	;; [unrolled: 2-line block ×3, first 2 shown]
	ds_write_b128 v10, v[2:5]
	ds_write_b128 v10, v[6:9] offset:2048
	s_waitcnt lgkmcnt(0)
	s_barrier
	s_and_saveexec_b64 s[0:1], vcc
	s_cbranch_execz .LBB33_4
; %bb.3:
	s_load_dwordx2 s[0:1], s[4:5], 0x18
	s_load_dwordx2 s[2:3], s[4:5], 0x30
	s_load_dword s8, s[4:5], 0x20
	ds_read_b128 v[2:5], v0 offset:2048
	ds_read_b128 v[6:9], v0
	s_waitcnt lgkmcnt(0)
	s_mul_i32 s4, s0, s7
	s_mul_hi_u32 s5, s0, s6
	s_mul_i32 s1, s1, s6
	s_add_i32 s4, s5, s4
	s_add_i32 s1, s4, s1
	s_mul_i32 s0, s0, s6
	s_lshl_b64 s[0:1], s[0:1], 1
	v_mul_f32_e32 v0, s8, v5
	s_add_u32 s0, s2, s0
	v_bfe_u32 v5, v0, 16, 1
	s_movk_i32 s2, 0x7fff
	v_add3_u32 v5, v5, v0, s2
	v_or_b32_e32 v10, 0x400000, v0
	v_cmp_u_f32_e32 vcc, v0, v0
	v_mul_f32_e32 v4, s8, v4
	v_cndmask_b32_e32 v0, v5, v10, vcc
	v_bfe_u32 v5, v4, 16, 1
	v_add3_u32 v5, v5, v4, s2
	v_or_b32_e32 v10, 0x400000, v4
	v_cmp_u_f32_e32 vcc, v4, v4
	v_mul_f32_e32 v3, s8, v3
	v_cndmask_b32_e32 v4, v5, v10, vcc
	v_bfe_u32 v5, v3, 16, 1
	v_add3_u32 v5, v5, v3, s2
	v_or_b32_e32 v10, 0x400000, v3
	v_cmp_u_f32_e32 vcc, v3, v3
	v_mul_f32_e32 v2, s8, v2
	v_cndmask_b32_e32 v3, v5, v10, vcc
	v_bfe_u32 v5, v2, 16, 1
	v_add3_u32 v5, v5, v2, s2
	v_or_b32_e32 v10, 0x400000, v2
	v_cmp_u_f32_e32 vcc, v2, v2
	v_cndmask_b32_e32 v2, v5, v10, vcc
	v_mul_f32_e32 v5, s8, v9
	v_bfe_u32 v9, v5, 16, 1
	v_add3_u32 v9, v9, v5, s2
	v_or_b32_e32 v10, 0x400000, v5
	v_cmp_u_f32_e32 vcc, v5, v5
	v_mul_f32_e32 v5, s8, v8
	v_bfe_u32 v8, v5, 16, 1
	v_cndmask_b32_e32 v9, v9, v10, vcc
	v_add3_u32 v8, v8, v5, s2
	v_or_b32_e32 v10, 0x400000, v5
	v_cmp_u_f32_e32 vcc, v5, v5
	v_mul_f32_e32 v5, s8, v7
	v_bfe_u32 v7, v5, 16, 1
	v_cndmask_b32_e32 v8, v8, v10, vcc
	;; [unrolled: 6-line block ×3, first 2 shown]
	v_add3_u32 v6, v6, v5, s2
	v_or_b32_e32 v10, 0x400000, v5
	v_cmp_u_f32_e32 vcc, v5, v5
	v_cndmask_b32_e32 v6, v6, v10, vcc
	s_mov_b32 s2, 0x7060302
	s_addc_u32 s1, s3, s1
	v_perm_b32 v5, v0, v4, s2
	v_perm_b32 v4, v3, v2, s2
	;; [unrolled: 1-line block ×4, first 2 shown]
	global_store_dwordx4 v1, v[2:5], s[0:1]
.LBB33_4:
	s_endpgm
	.section	.rodata,"a",@progbits
	.p2align	6, 0x0
	.amdhsa_kernel _Z30fast_hadamard_transform_kernelI37fast_hadamard_transform_kernel_traitsILi128ELi10E14__hip_bfloat16EEv18HadamardParamsBase
		.amdhsa_group_segment_fixed_size 0
		.amdhsa_private_segment_fixed_size 0
		.amdhsa_kernarg_size 56
		.amdhsa_user_sgpr_count 6
		.amdhsa_user_sgpr_private_segment_buffer 1
		.amdhsa_user_sgpr_dispatch_ptr 0
		.amdhsa_user_sgpr_queue_ptr 0
		.amdhsa_user_sgpr_kernarg_segment_ptr 1
		.amdhsa_user_sgpr_dispatch_id 0
		.amdhsa_user_sgpr_flat_scratch_init 0
		.amdhsa_user_sgpr_private_segment_size 0
		.amdhsa_uses_dynamic_stack 0
		.amdhsa_system_sgpr_private_segment_wavefront_offset 0
		.amdhsa_system_sgpr_workgroup_id_x 1
		.amdhsa_system_sgpr_workgroup_id_y 0
		.amdhsa_system_sgpr_workgroup_id_z 0
		.amdhsa_system_sgpr_workgroup_info 0
		.amdhsa_system_vgpr_workitem_id 0
		.amdhsa_next_free_vgpr 18
		.amdhsa_next_free_sgpr 12
		.amdhsa_reserve_vcc 1
		.amdhsa_reserve_flat_scratch 0
		.amdhsa_float_round_mode_32 0
		.amdhsa_float_round_mode_16_64 0
		.amdhsa_float_denorm_mode_32 3
		.amdhsa_float_denorm_mode_16_64 3
		.amdhsa_dx10_clamp 1
		.amdhsa_ieee_mode 1
		.amdhsa_fp16_overflow 0
		.amdhsa_exception_fp_ieee_invalid_op 0
		.amdhsa_exception_fp_denorm_src 0
		.amdhsa_exception_fp_ieee_div_zero 0
		.amdhsa_exception_fp_ieee_overflow 0
		.amdhsa_exception_fp_ieee_underflow 0
		.amdhsa_exception_fp_ieee_inexact 0
		.amdhsa_exception_int_div_zero 0
	.end_amdhsa_kernel
	.section	.text._Z30fast_hadamard_transform_kernelI37fast_hadamard_transform_kernel_traitsILi128ELi10E14__hip_bfloat16EEv18HadamardParamsBase,"axG",@progbits,_Z30fast_hadamard_transform_kernelI37fast_hadamard_transform_kernel_traitsILi128ELi10E14__hip_bfloat16EEv18HadamardParamsBase,comdat
.Lfunc_end33:
	.size	_Z30fast_hadamard_transform_kernelI37fast_hadamard_transform_kernel_traitsILi128ELi10E14__hip_bfloat16EEv18HadamardParamsBase, .Lfunc_end33-_Z30fast_hadamard_transform_kernelI37fast_hadamard_transform_kernel_traitsILi128ELi10E14__hip_bfloat16EEv18HadamardParamsBase
                                        ; -- End function
	.set _Z30fast_hadamard_transform_kernelI37fast_hadamard_transform_kernel_traitsILi128ELi10E14__hip_bfloat16EEv18HadamardParamsBase.num_vgpr, 18
	.set _Z30fast_hadamard_transform_kernelI37fast_hadamard_transform_kernel_traitsILi128ELi10E14__hip_bfloat16EEv18HadamardParamsBase.num_agpr, 0
	.set _Z30fast_hadamard_transform_kernelI37fast_hadamard_transform_kernel_traitsILi128ELi10E14__hip_bfloat16EEv18HadamardParamsBase.numbered_sgpr, 12
	.set _Z30fast_hadamard_transform_kernelI37fast_hadamard_transform_kernel_traitsILi128ELi10E14__hip_bfloat16EEv18HadamardParamsBase.num_named_barrier, 0
	.set _Z30fast_hadamard_transform_kernelI37fast_hadamard_transform_kernel_traitsILi128ELi10E14__hip_bfloat16EEv18HadamardParamsBase.private_seg_size, 0
	.set _Z30fast_hadamard_transform_kernelI37fast_hadamard_transform_kernel_traitsILi128ELi10E14__hip_bfloat16EEv18HadamardParamsBase.uses_vcc, 1
	.set _Z30fast_hadamard_transform_kernelI37fast_hadamard_transform_kernel_traitsILi128ELi10E14__hip_bfloat16EEv18HadamardParamsBase.uses_flat_scratch, 0
	.set _Z30fast_hadamard_transform_kernelI37fast_hadamard_transform_kernel_traitsILi128ELi10E14__hip_bfloat16EEv18HadamardParamsBase.has_dyn_sized_stack, 0
	.set _Z30fast_hadamard_transform_kernelI37fast_hadamard_transform_kernel_traitsILi128ELi10E14__hip_bfloat16EEv18HadamardParamsBase.has_recursion, 0
	.set _Z30fast_hadamard_transform_kernelI37fast_hadamard_transform_kernel_traitsILi128ELi10E14__hip_bfloat16EEv18HadamardParamsBase.has_indirect_call, 0
	.section	.AMDGPU.csdata,"",@progbits
; Kernel info:
; codeLenInByte = 2372
; TotalNumSgprs: 16
; NumVgprs: 18
; ScratchSize: 0
; MemoryBound: 0
; FloatMode: 240
; IeeeMode: 1
; LDSByteSize: 0 bytes/workgroup (compile time only)
; SGPRBlocks: 1
; VGPRBlocks: 4
; NumSGPRsForWavesPerEU: 16
; NumVGPRsForWavesPerEU: 18
; Occupancy: 10
; WaveLimiterHint : 0
; COMPUTE_PGM_RSRC2:SCRATCH_EN: 0
; COMPUTE_PGM_RSRC2:USER_SGPR: 6
; COMPUTE_PGM_RSRC2:TRAP_HANDLER: 0
; COMPUTE_PGM_RSRC2:TGID_X_EN: 1
; COMPUTE_PGM_RSRC2:TGID_Y_EN: 0
; COMPUTE_PGM_RSRC2:TGID_Z_EN: 0
; COMPUTE_PGM_RSRC2:TIDIG_COMP_CNT: 0
	.section	.text._Z30fast_hadamard_transform_kernelI37fast_hadamard_transform_kernel_traitsILi256ELi11E14__hip_bfloat16EEv18HadamardParamsBase,"axG",@progbits,_Z30fast_hadamard_transform_kernelI37fast_hadamard_transform_kernel_traitsILi256ELi11E14__hip_bfloat16EEv18HadamardParamsBase,comdat
	.protected	_Z30fast_hadamard_transform_kernelI37fast_hadamard_transform_kernel_traitsILi256ELi11E14__hip_bfloat16EEv18HadamardParamsBase ; -- Begin function _Z30fast_hadamard_transform_kernelI37fast_hadamard_transform_kernel_traitsILi256ELi11E14__hip_bfloat16EEv18HadamardParamsBase
	.globl	_Z30fast_hadamard_transform_kernelI37fast_hadamard_transform_kernel_traitsILi256ELi11E14__hip_bfloat16EEv18HadamardParamsBase
	.p2align	8
	.type	_Z30fast_hadamard_transform_kernelI37fast_hadamard_transform_kernel_traitsILi256ELi11E14__hip_bfloat16EEv18HadamardParamsBase,@function
_Z30fast_hadamard_transform_kernelI37fast_hadamard_transform_kernel_traitsILi256ELi11E14__hip_bfloat16EEv18HadamardParamsBase: ; @_Z30fast_hadamard_transform_kernelI37fast_hadamard_transform_kernel_traitsILi256ELi11E14__hip_bfloat16EEv18HadamardParamsBase
; %bb.0:
	s_load_dword s0, s[4:5], 0x4
	v_lshlrev_b32_e32 v1, 3, v0
	s_ashr_i32 s7, s6, 31
	v_mov_b32_e32 v2, 0
	v_mov_b32_e32 v3, 0
	s_waitcnt lgkmcnt(0)
	v_cmp_gt_u32_e32 vcc, s0, v1
	v_lshlrev_b32_e32 v1, 4, v0
	v_mov_b32_e32 v4, 0
	v_mov_b32_e32 v5, 0
	;; [unrolled: 1-line block ×6, first 2 shown]
	s_and_saveexec_b64 s[0:1], vcc
	s_cbranch_execz .LBB34_2
; %bb.1:
	s_load_dwordx2 s[2:3], s[4:5], 0x10
	s_load_dwordx2 s[8:9], s[4:5], 0x28
	s_waitcnt lgkmcnt(0)
	s_mul_i32 s10, s2, s7
	s_mul_hi_u32 s11, s2, s6
	s_mul_i32 s3, s3, s6
	s_add_i32 s10, s11, s10
	s_mul_i32 s2, s2, s6
	s_add_i32 s3, s10, s3
	s_lshl_b64 s[2:3], s[2:3], 1
	s_add_u32 s2, s8, s2
	s_addc_u32 s3, s9, s3
	global_load_dwordx4 v[10:13], v1, s[2:3]
	s_waitcnt vmcnt(0)
	v_lshlrev_b32_e32 v9, 16, v10
	v_and_b32_e32 v8, 0xffff0000, v10
	v_lshlrev_b32_e32 v7, 16, v11
	v_and_b32_e32 v6, 0xffff0000, v11
	;; [unrolled: 2-line block ×4, first 2 shown]
.LBB34_2:
	s_or_b64 exec, exec, s[0:1]
	v_add_f32_e32 v10, v8, v9
	v_sub_f32_e32 v8, v9, v8
	v_add_f32_e32 v9, v6, v7
	v_sub_f32_e32 v6, v7, v6
	;; [unrolled: 2-line block ×12, first 2 shown]
	v_mbcnt_lo_u32_b32 v6, -1, 0
	v_mbcnt_hi_u32_b32 v6, -1, v6
	v_and_b32_e32 v11, 64, v6
	v_add_u32_e32 v11, 64, v11
	v_xor_b32_e32 v12, 1, v6
	v_cmp_lt_i32_e64 s[0:1], v12, v11
	v_cndmask_b32_e64 v12, v6, v12, s[0:1]
	v_lshlrev_b32_e32 v12, 2, v12
	ds_bpermute_b32 v13, v12, v4
	v_and_b32_e32 v14, 1, v0
	v_cmp_eq_u32_e64 s[0:1], 0, v14
	v_cndmask_b32_e64 v4, -v4, v4, s[0:1]
	ds_bpermute_b32 v14, v12, v9
	s_waitcnt lgkmcnt(1)
	v_add_f32_e32 v4, v4, v13
	ds_bpermute_b32 v13, v12, v10
	v_cndmask_b32_e64 v10, -v10, v10, s[0:1]
	ds_bpermute_b32 v15, v12, v8
	v_cndmask_b32_e64 v9, -v9, v9, s[0:1]
	s_waitcnt lgkmcnt(2)
	v_add_f32_e32 v9, v9, v14
	s_waitcnt lgkmcnt(1)
	v_add_f32_e32 v10, v10, v13
	ds_bpermute_b32 v13, v12, v3
	v_cndmask_b32_e64 v3, -v3, v3, s[0:1]
	ds_bpermute_b32 v14, v12, v7
	v_cndmask_b32_e64 v8, -v8, v8, s[0:1]
	s_waitcnt lgkmcnt(2)
	v_add_f32_e32 v8, v8, v15
	;; [unrolled: 8-line block ×3, first 2 shown]
	s_waitcnt lgkmcnt(1)
	v_add_f32_e32 v5, v5, v13
	v_xor_b32_e32 v13, 2, v6
	v_cmp_lt_i32_e64 s[2:3], v13, v11
	v_cndmask_b32_e64 v13, v6, v13, s[2:3]
	v_lshlrev_b32_e32 v13, 2, v13
	ds_bpermute_b32 v14, v13, v4
	v_cndmask_b32_e64 v2, -v2, v2, s[0:1]
	s_waitcnt lgkmcnt(1)
	v_add_f32_e32 v2, v2, v15
	v_and_b32_e32 v15, 2, v0
	v_cmp_eq_u32_e64 s[2:3], 0, v15
	v_cndmask_b32_e64 v4, -v4, v4, s[2:3]
	s_waitcnt lgkmcnt(0)
	v_add_f32_e32 v4, v4, v14
	ds_bpermute_b32 v14, v13, v10
	v_cndmask_b32_e64 v10, -v10, v10, s[2:3]
	ds_bpermute_b32 v15, v13, v9
	ds_bpermute_b32 v16, v13, v8
	v_cndmask_b32_e64 v9, -v9, v9, s[2:3]
	s_waitcnt lgkmcnt(2)
	v_add_f32_e32 v10, v10, v14
	ds_bpermute_b32 v14, v13, v3
	v_cndmask_b32_e64 v3, -v3, v3, s[2:3]
	s_waitcnt lgkmcnt(2)
	v_add_f32_e32 v9, v9, v15
	;; [unrolled: 4-line block ×3, first 2 shown]
	ds_bpermute_b32 v14, v13, v5
	v_cndmask_b32_e64 v5, -v5, v5, s[2:3]
	v_add_f32_e32 v8, v8, v16
	ds_bpermute_b32 v16, v13, v2
	v_cndmask_b32_e64 v7, -v7, v7, s[2:3]
	s_waitcnt lgkmcnt(1)
	v_add_f32_e32 v5, v5, v14
	v_xor_b32_e32 v14, 4, v6
	v_cmp_lt_i32_e64 s[8:9], v14, v11
	v_cndmask_b32_e64 v14, v6, v14, s[8:9]
	v_lshlrev_b32_e32 v14, 2, v14
	v_add_f32_e32 v7, v7, v15
	ds_bpermute_b32 v15, v14, v4
	v_cndmask_b32_e64 v2, -v2, v2, s[2:3]
	s_waitcnt lgkmcnt(1)
	v_add_f32_e32 v2, v2, v16
	v_and_b32_e32 v16, 4, v0
	v_cmp_eq_u32_e64 s[8:9], 0, v16
	v_cndmask_b32_e64 v4, -v4, v4, s[8:9]
	s_waitcnt lgkmcnt(0)
	v_add_f32_e32 v4, v4, v15
	ds_bpermute_b32 v15, v14, v10
	v_cndmask_b32_e64 v10, -v10, v10, s[8:9]
	ds_bpermute_b32 v16, v14, v9
	v_cndmask_b32_e64 v9, -v9, v9, s[8:9]
	ds_bpermute_b32 v17, v14, v8
	s_waitcnt lgkmcnt(2)
	v_add_f32_e32 v10, v10, v15
	ds_bpermute_b32 v15, v14, v3
	v_cndmask_b32_e64 v3, -v3, v3, s[8:9]
	s_waitcnt lgkmcnt(2)
	v_add_f32_e32 v9, v9, v16
	ds_bpermute_b32 v16, v14, v7
	v_cndmask_b32_e64 v8, -v8, v8, s[8:9]
	s_waitcnt lgkmcnt(1)
	v_add_f32_e32 v3, v3, v15
	ds_bpermute_b32 v15, v14, v5
	ds_bpermute_b32 v14, v14, v2
	v_cndmask_b32_e64 v2, -v2, v2, s[8:9]
	v_cndmask_b32_e64 v7, -v7, v7, s[8:9]
	;; [unrolled: 1-line block ×3, first 2 shown]
	s_waitcnt lgkmcnt(1)
	v_add_f32_e32 v5, v5, v15
	s_waitcnt lgkmcnt(0)
	v_add_f32_e32 v2, v2, v14
	v_xor_b32_e32 v14, 8, v6
	v_cmp_lt_i32_e64 s[8:9], v14, v11
	v_cndmask_b32_e64 v14, v6, v14, s[8:9]
	v_lshlrev_b32_e32 v14, 2, v14
	ds_bpermute_b32 v15, v14, v4
	v_add_f32_e32 v7, v7, v16
	v_and_b32_e32 v16, 8, v0
	v_cmp_eq_u32_e64 s[8:9], 0, v16
	v_cndmask_b32_e64 v4, -v4, v4, s[8:9]
	s_waitcnt lgkmcnt(0)
	v_add_f32_e32 v4, v4, v15
	ds_bpermute_b32 v15, v14, v10
	v_cndmask_b32_e64 v10, -v10, v10, s[8:9]
	ds_bpermute_b32 v16, v14, v9
	v_add_f32_e32 v8, v8, v17
	v_cndmask_b32_e64 v9, -v9, v9, s[8:9]
	s_waitcnt lgkmcnt(1)
	v_add_f32_e32 v10, v10, v15
	ds_bpermute_b32 v15, v14, v3
	v_cndmask_b32_e64 v3, -v3, v3, s[8:9]
	ds_bpermute_b32 v17, v14, v8
	s_waitcnt lgkmcnt(2)
	v_add_f32_e32 v9, v9, v16
	ds_bpermute_b32 v16, v14, v7
	s_waitcnt lgkmcnt(2)
	v_add_f32_e32 v3, v3, v15
	ds_bpermute_b32 v15, v14, v5
	ds_bpermute_b32 v14, v14, v2
	v_cndmask_b32_e64 v2, -v2, v2, s[8:9]
	v_cndmask_b32_e64 v8, -v8, v8, s[8:9]
	;; [unrolled: 1-line block ×4, first 2 shown]
	s_waitcnt lgkmcnt(0)
	v_add_f32_e32 v2, v2, v14
	v_xor_b32_e32 v14, 16, v6
	v_cmp_lt_i32_e64 s[8:9], v14, v11
	v_cndmask_b32_e64 v14, v6, v14, s[8:9]
	v_lshlrev_b32_e32 v14, 2, v14
	v_add_f32_e32 v5, v5, v15
	ds_bpermute_b32 v15, v14, v4
	v_add_f32_e32 v7, v7, v16
	v_and_b32_e32 v16, 16, v0
	v_cmp_eq_u32_e64 s[8:9], 0, v16
	v_cndmask_b32_e64 v4, -v4, v4, s[8:9]
	s_waitcnt lgkmcnt(0)
	v_add_f32_e32 v4, v4, v15
	ds_bpermute_b32 v15, v14, v10
	v_cndmask_b32_e64 v10, -v10, v10, s[8:9]
	ds_bpermute_b32 v16, v14, v9
	v_add_f32_e32 v8, v8, v17
	v_cndmask_b32_e64 v9, -v9, v9, s[8:9]
	s_waitcnt lgkmcnt(1)
	v_add_f32_e32 v10, v10, v15
	ds_bpermute_b32 v15, v14, v3
	v_cndmask_b32_e64 v3, -v3, v3, s[8:9]
	ds_bpermute_b32 v17, v14, v8
	s_waitcnt lgkmcnt(2)
	v_add_f32_e32 v9, v9, v16
	ds_bpermute_b32 v16, v14, v7
	s_waitcnt lgkmcnt(2)
	v_add_f32_e32 v15, v3, v15
	ds_bpermute_b32 v3, v14, v5
	ds_bpermute_b32 v14, v14, v2
	v_cndmask_b32_e64 v2, -v2, v2, s[8:9]
	v_cndmask_b32_e64 v8, -v8, v8, s[8:9]
	;; [unrolled: 1-line block ×4, first 2 shown]
	s_waitcnt lgkmcnt(0)
	v_add_f32_e32 v14, v2, v14
	v_xor_b32_e32 v2, 32, v6
	v_cmp_lt_i32_e64 s[8:9], v2, v11
	v_cndmask_b32_e64 v2, v6, v2, s[8:9]
	v_lshlrev_b32_e32 v11, 2, v2
	v_add_f32_e32 v8, v8, v17
	v_add_f32_e32 v7, v7, v16
	;; [unrolled: 1-line block ×3, first 2 shown]
	ds_bpermute_b32 v2, v11, v4
	v_and_b32_e32 v3, 32, v0
	ds_bpermute_b32 v5, v11, v8
	v_cmp_eq_u32_e64 s[8:9], 0, v3
	v_cndmask_b32_e64 v3, -v4, v4, s[8:9]
	ds_bpermute_b32 v4, v11, v10
	s_waitcnt lgkmcnt(2)
	v_add_f32_e32 v2, v3, v2
	v_cndmask_b32_e64 v3, -v8, v8, s[8:9]
	s_waitcnt lgkmcnt(1)
	v_add_f32_e32 v3, v3, v5
	ds_bpermute_b32 v5, v11, v9
	v_cndmask_b32_e64 v6, -v10, v10, s[8:9]
	s_waitcnt lgkmcnt(1)
	v_add_f32_e32 v4, v6, v4
	ds_bpermute_b32 v6, v11, v15
	v_cndmask_b32_e64 v8, -v9, v9, s[8:9]
	s_waitcnt lgkmcnt(1)
	v_add_f32_e32 v5, v8, v5
	v_cndmask_b32_e64 v8, -v15, v15, s[8:9]
	ds_bpermute_b32 v9, v11, v7
	s_waitcnt lgkmcnt(1)
	v_add_f32_e32 v6, v8, v6
	ds_bpermute_b32 v8, v11, v16
	ds_bpermute_b32 v10, v11, v14
	v_cndmask_b32_e64 v7, -v7, v7, s[8:9]
	s_waitcnt lgkmcnt(2)
	v_add_f32_e32 v7, v7, v9
	v_cndmask_b32_e64 v9, -v16, v16, s[8:9]
	s_waitcnt lgkmcnt(1)
	v_add_f32_e32 v8, v9, v8
	;; [unrolled: 3-line block ×3, first 2 shown]
	v_lshrrev_b32_e32 v10, 6, v0
	v_and_b32_e32 v11, 3, v0
	v_lshrrev_b32_e32 v14, 2, v0
	v_xor_b32_e32 v0, v10, v0
	v_lshl_or_b32 v10, v11, 6, v14
	v_xor_b32_e32 v10, v10, v11
	v_lshl_add_u32 v0, v0, 4, 0
	v_lshl_add_u32 v10, v10, 4, 0
	s_barrier
	ds_write_b128 v0, v[2:5]
	ds_write_b128 v0, v[6:9] offset:4096
	s_waitcnt lgkmcnt(0)
	s_barrier
	ds_read_b128 v[2:5], v10
	ds_read_b128 v[6:9], v10 offset:4096
	s_waitcnt lgkmcnt(0)
	s_barrier
	ds_bpermute_b32 v11, v12, v2
	v_cndmask_b32_e64 v2, -v2, v2, s[0:1]
	ds_bpermute_b32 v14, v12, v3
	v_cndmask_b32_e64 v3, -v3, v3, s[0:1]
	s_waitcnt lgkmcnt(1)
	v_add_f32_e32 v2, v2, v11
	ds_bpermute_b32 v11, v12, v4
	v_cndmask_b32_e64 v4, -v4, v4, s[0:1]
	s_waitcnt lgkmcnt(1)
	v_add_f32_e32 v3, v3, v14
	;; [unrolled: 4-line block ×5, first 2 shown]
	ds_bpermute_b32 v11, v12, v8
	v_cndmask_b32_e64 v8, -v8, v8, s[0:1]
	ds_bpermute_b32 v12, v12, v9
	v_cndmask_b32_e64 v9, -v9, v9, s[0:1]
	s_waitcnt lgkmcnt(2)
	v_add_f32_e32 v7, v7, v14
	s_waitcnt lgkmcnt(1)
	v_add_f32_e32 v8, v8, v11
	ds_bpermute_b32 v11, v13, v2
	v_cndmask_b32_e64 v2, -v2, v2, s[2:3]
	s_waitcnt lgkmcnt(1)
	v_add_f32_e32 v9, v9, v12
	ds_bpermute_b32 v12, v13, v3
	v_cndmask_b32_e64 v3, -v3, v3, s[2:3]
	s_waitcnt lgkmcnt(1)
	v_add_f32_e32 v2, v2, v11
	ds_bpermute_b32 v11, v13, v4
	v_cndmask_b32_e64 v4, -v4, v4, s[2:3]
	s_waitcnt lgkmcnt(1)
	v_add_f32_e32 v3, v3, v12
	ds_bpermute_b32 v12, v13, v5
	v_cndmask_b32_e64 v5, -v5, v5, s[2:3]
	s_waitcnt lgkmcnt(1)
	v_add_f32_e32 v4, v4, v11
	ds_bpermute_b32 v11, v13, v6
	v_cndmask_b32_e64 v6, -v6, v6, s[2:3]
	s_waitcnt lgkmcnt(1)
	v_add_f32_e32 v5, v5, v12
	ds_bpermute_b32 v12, v13, v7
	v_cndmask_b32_e64 v7, -v7, v7, s[2:3]
	s_waitcnt lgkmcnt(1)
	v_add_f32_e32 v6, v6, v11
	ds_bpermute_b32 v11, v13, v8
	ds_bpermute_b32 v13, v13, v9
	v_cndmask_b32_e64 v8, -v8, v8, s[2:3]
	v_cndmask_b32_e64 v9, -v9, v9, s[2:3]
	s_waitcnt lgkmcnt(2)
	v_add_f32_e32 v7, v7, v12
	s_waitcnt lgkmcnt(1)
	v_add_f32_e32 v8, v8, v11
	;; [unrolled: 2-line block ×3, first 2 shown]
	ds_write_b128 v10, v[2:5]
	ds_write_b128 v10, v[6:9] offset:4096
	s_waitcnt lgkmcnt(0)
	s_barrier
	s_and_saveexec_b64 s[0:1], vcc
	s_cbranch_execz .LBB34_4
; %bb.3:
	s_load_dwordx2 s[0:1], s[4:5], 0x18
	s_load_dwordx2 s[2:3], s[4:5], 0x30
	s_load_dword s8, s[4:5], 0x20
	ds_read_b128 v[2:5], v0 offset:4096
	ds_read_b128 v[6:9], v0
	s_waitcnt lgkmcnt(0)
	s_mul_i32 s4, s0, s7
	s_mul_hi_u32 s5, s0, s6
	s_mul_i32 s1, s1, s6
	s_add_i32 s4, s5, s4
	s_add_i32 s1, s4, s1
	s_mul_i32 s0, s0, s6
	s_lshl_b64 s[0:1], s[0:1], 1
	v_mul_f32_e32 v0, s8, v5
	s_add_u32 s0, s2, s0
	v_bfe_u32 v5, v0, 16, 1
	s_movk_i32 s2, 0x7fff
	v_add3_u32 v5, v5, v0, s2
	v_or_b32_e32 v10, 0x400000, v0
	v_cmp_u_f32_e32 vcc, v0, v0
	v_mul_f32_e32 v4, s8, v4
	v_cndmask_b32_e32 v0, v5, v10, vcc
	v_bfe_u32 v5, v4, 16, 1
	v_add3_u32 v5, v5, v4, s2
	v_or_b32_e32 v10, 0x400000, v4
	v_cmp_u_f32_e32 vcc, v4, v4
	v_mul_f32_e32 v3, s8, v3
	v_cndmask_b32_e32 v4, v5, v10, vcc
	v_bfe_u32 v5, v3, 16, 1
	;; [unrolled: 6-line block ×3, first 2 shown]
	v_add3_u32 v5, v5, v2, s2
	v_or_b32_e32 v10, 0x400000, v2
	v_cmp_u_f32_e32 vcc, v2, v2
	v_cndmask_b32_e32 v2, v5, v10, vcc
	v_mul_f32_e32 v5, s8, v9
	v_bfe_u32 v9, v5, 16, 1
	v_add3_u32 v9, v9, v5, s2
	v_or_b32_e32 v10, 0x400000, v5
	v_cmp_u_f32_e32 vcc, v5, v5
	v_mul_f32_e32 v5, s8, v8
	v_bfe_u32 v8, v5, 16, 1
	v_cndmask_b32_e32 v9, v9, v10, vcc
	v_add3_u32 v8, v8, v5, s2
	v_or_b32_e32 v10, 0x400000, v5
	v_cmp_u_f32_e32 vcc, v5, v5
	v_mul_f32_e32 v5, s8, v7
	v_bfe_u32 v7, v5, 16, 1
	v_cndmask_b32_e32 v8, v8, v10, vcc
	;; [unrolled: 6-line block ×3, first 2 shown]
	v_add3_u32 v6, v6, v5, s2
	v_or_b32_e32 v10, 0x400000, v5
	v_cmp_u_f32_e32 vcc, v5, v5
	v_cndmask_b32_e32 v6, v6, v10, vcc
	s_mov_b32 s2, 0x7060302
	s_addc_u32 s1, s3, s1
	v_perm_b32 v5, v0, v4, s2
	v_perm_b32 v4, v3, v2, s2
	;; [unrolled: 1-line block ×4, first 2 shown]
	global_store_dwordx4 v1, v[2:5], s[0:1]
.LBB34_4:
	s_endpgm
	.section	.rodata,"a",@progbits
	.p2align	6, 0x0
	.amdhsa_kernel _Z30fast_hadamard_transform_kernelI37fast_hadamard_transform_kernel_traitsILi256ELi11E14__hip_bfloat16EEv18HadamardParamsBase
		.amdhsa_group_segment_fixed_size 0
		.amdhsa_private_segment_fixed_size 0
		.amdhsa_kernarg_size 56
		.amdhsa_user_sgpr_count 6
		.amdhsa_user_sgpr_private_segment_buffer 1
		.amdhsa_user_sgpr_dispatch_ptr 0
		.amdhsa_user_sgpr_queue_ptr 0
		.amdhsa_user_sgpr_kernarg_segment_ptr 1
		.amdhsa_user_sgpr_dispatch_id 0
		.amdhsa_user_sgpr_flat_scratch_init 0
		.amdhsa_user_sgpr_private_segment_size 0
		.amdhsa_uses_dynamic_stack 0
		.amdhsa_system_sgpr_private_segment_wavefront_offset 0
		.amdhsa_system_sgpr_workgroup_id_x 1
		.amdhsa_system_sgpr_workgroup_id_y 0
		.amdhsa_system_sgpr_workgroup_id_z 0
		.amdhsa_system_sgpr_workgroup_info 0
		.amdhsa_system_vgpr_workitem_id 0
		.amdhsa_next_free_vgpr 18
		.amdhsa_next_free_sgpr 12
		.amdhsa_reserve_vcc 1
		.amdhsa_reserve_flat_scratch 0
		.amdhsa_float_round_mode_32 0
		.amdhsa_float_round_mode_16_64 0
		.amdhsa_float_denorm_mode_32 3
		.amdhsa_float_denorm_mode_16_64 3
		.amdhsa_dx10_clamp 1
		.amdhsa_ieee_mode 1
		.amdhsa_fp16_overflow 0
		.amdhsa_exception_fp_ieee_invalid_op 0
		.amdhsa_exception_fp_denorm_src 0
		.amdhsa_exception_fp_ieee_div_zero 0
		.amdhsa_exception_fp_ieee_overflow 0
		.amdhsa_exception_fp_ieee_underflow 0
		.amdhsa_exception_fp_ieee_inexact 0
		.amdhsa_exception_int_div_zero 0
	.end_amdhsa_kernel
	.section	.text._Z30fast_hadamard_transform_kernelI37fast_hadamard_transform_kernel_traitsILi256ELi11E14__hip_bfloat16EEv18HadamardParamsBase,"axG",@progbits,_Z30fast_hadamard_transform_kernelI37fast_hadamard_transform_kernel_traitsILi256ELi11E14__hip_bfloat16EEv18HadamardParamsBase,comdat
.Lfunc_end34:
	.size	_Z30fast_hadamard_transform_kernelI37fast_hadamard_transform_kernel_traitsILi256ELi11E14__hip_bfloat16EEv18HadamardParamsBase, .Lfunc_end34-_Z30fast_hadamard_transform_kernelI37fast_hadamard_transform_kernel_traitsILi256ELi11E14__hip_bfloat16EEv18HadamardParamsBase
                                        ; -- End function
	.set _Z30fast_hadamard_transform_kernelI37fast_hadamard_transform_kernel_traitsILi256ELi11E14__hip_bfloat16EEv18HadamardParamsBase.num_vgpr, 18
	.set _Z30fast_hadamard_transform_kernelI37fast_hadamard_transform_kernel_traitsILi256ELi11E14__hip_bfloat16EEv18HadamardParamsBase.num_agpr, 0
	.set _Z30fast_hadamard_transform_kernelI37fast_hadamard_transform_kernel_traitsILi256ELi11E14__hip_bfloat16EEv18HadamardParamsBase.numbered_sgpr, 12
	.set _Z30fast_hadamard_transform_kernelI37fast_hadamard_transform_kernel_traitsILi256ELi11E14__hip_bfloat16EEv18HadamardParamsBase.num_named_barrier, 0
	.set _Z30fast_hadamard_transform_kernelI37fast_hadamard_transform_kernel_traitsILi256ELi11E14__hip_bfloat16EEv18HadamardParamsBase.private_seg_size, 0
	.set _Z30fast_hadamard_transform_kernelI37fast_hadamard_transform_kernel_traitsILi256ELi11E14__hip_bfloat16EEv18HadamardParamsBase.uses_vcc, 1
	.set _Z30fast_hadamard_transform_kernelI37fast_hadamard_transform_kernel_traitsILi256ELi11E14__hip_bfloat16EEv18HadamardParamsBase.uses_flat_scratch, 0
	.set _Z30fast_hadamard_transform_kernelI37fast_hadamard_transform_kernel_traitsILi256ELi11E14__hip_bfloat16EEv18HadamardParamsBase.has_dyn_sized_stack, 0
	.set _Z30fast_hadamard_transform_kernelI37fast_hadamard_transform_kernel_traitsILi256ELi11E14__hip_bfloat16EEv18HadamardParamsBase.has_recursion, 0
	.set _Z30fast_hadamard_transform_kernelI37fast_hadamard_transform_kernel_traitsILi256ELi11E14__hip_bfloat16EEv18HadamardParamsBase.has_indirect_call, 0
	.section	.AMDGPU.csdata,"",@progbits
; Kernel info:
; codeLenInByte = 2572
; TotalNumSgprs: 16
; NumVgprs: 18
; ScratchSize: 0
; MemoryBound: 0
; FloatMode: 240
; IeeeMode: 1
; LDSByteSize: 0 bytes/workgroup (compile time only)
; SGPRBlocks: 1
; VGPRBlocks: 4
; NumSGPRsForWavesPerEU: 16
; NumVGPRsForWavesPerEU: 18
; Occupancy: 10
; WaveLimiterHint : 0
; COMPUTE_PGM_RSRC2:SCRATCH_EN: 0
; COMPUTE_PGM_RSRC2:USER_SGPR: 6
; COMPUTE_PGM_RSRC2:TRAP_HANDLER: 0
; COMPUTE_PGM_RSRC2:TGID_X_EN: 1
; COMPUTE_PGM_RSRC2:TGID_Y_EN: 0
; COMPUTE_PGM_RSRC2:TGID_Z_EN: 0
; COMPUTE_PGM_RSRC2:TIDIG_COMP_CNT: 0
	.section	.text._Z30fast_hadamard_transform_kernelI37fast_hadamard_transform_kernel_traitsILi256ELi12E14__hip_bfloat16EEv18HadamardParamsBase,"axG",@progbits,_Z30fast_hadamard_transform_kernelI37fast_hadamard_transform_kernel_traitsILi256ELi12E14__hip_bfloat16EEv18HadamardParamsBase,comdat
	.protected	_Z30fast_hadamard_transform_kernelI37fast_hadamard_transform_kernel_traitsILi256ELi12E14__hip_bfloat16EEv18HadamardParamsBase ; -- Begin function _Z30fast_hadamard_transform_kernelI37fast_hadamard_transform_kernel_traitsILi256ELi12E14__hip_bfloat16EEv18HadamardParamsBase
	.globl	_Z30fast_hadamard_transform_kernelI37fast_hadamard_transform_kernel_traitsILi256ELi12E14__hip_bfloat16EEv18HadamardParamsBase
	.p2align	8
	.type	_Z30fast_hadamard_transform_kernelI37fast_hadamard_transform_kernel_traitsILi256ELi12E14__hip_bfloat16EEv18HadamardParamsBase,@function
_Z30fast_hadamard_transform_kernelI37fast_hadamard_transform_kernel_traitsILi256ELi12E14__hip_bfloat16EEv18HadamardParamsBase: ; @_Z30fast_hadamard_transform_kernelI37fast_hadamard_transform_kernel_traitsILi256ELi12E14__hip_bfloat16EEv18HadamardParamsBase
; %bb.0:
	s_load_dwordx4 s[16:19], s[4:5], 0x10
	s_load_dword s7, s[4:5], 0x4
	s_load_dwordx4 s[12:15], s[4:5], 0x28
	s_ashr_i32 s20, s6, 31
	s_load_dword s10, s[4:5], 0x44
	s_waitcnt lgkmcnt(0)
	s_mul_hi_u32 s0, s16, s6
	s_mul_i32 s1, s16, s20
	s_add_i32 s0, s0, s1
	s_mul_i32 s1, s17, s6
	s_add_i32 s1, s0, s1
	s_mul_i32 s0, s16, s6
	s_lshl_b64 s[0:1], s[0:1], 1
	s_add_u32 s2, s12, s0
	v_lshlrev_b32_e32 v1, 3, v0
	s_addc_u32 s3, s13, s1
	v_cmp_gt_u32_e64 s[0:1], s7, v1
	v_mov_b32_e32 v1, 0
	v_lshlrev_b32_e32 v18, 4, v0
	v_mov_b32_e32 v2, 0
	v_mov_b32_e32 v3, 0
	;; [unrolled: 1-line block ×8, first 2 shown]
	s_and_saveexec_b64 s[8:9], s[0:1]
	s_cbranch_execz .LBB35_2
; %bb.1:
	global_load_dwordx4 v[10:13], v18, s[2:3]
	s_waitcnt vmcnt(0)
	v_lshlrev_b32_e32 v9, 16, v10
	v_and_b32_e32 v8, 0xffff0000, v10
	v_lshlrev_b32_e32 v7, 16, v11
	v_and_b32_e32 v6, 0xffff0000, v11
	;; [unrolled: 2-line block ×4, first 2 shown]
.LBB35_2:
	s_or_b64 exec, exec, s[8:9]
	s_and_b32 s8, 0xffff, s10
	v_add_u32_e32 v10, s8, v0
	v_lshlrev_b32_e32 v11, 3, v10
	v_cmp_gt_u32_e32 vcc, s7, v11
	v_lshlrev_b32_e32 v17, 4, v10
	v_mov_b32_e32 v10, 0
	v_mov_b32_e32 v11, 0
	;; [unrolled: 1-line block ×7, first 2 shown]
	s_and_saveexec_b64 s[8:9], vcc
	s_cbranch_execz .LBB35_4
; %bb.3:
	global_load_dwordx4 v[19:22], v17, s[2:3]
	s_waitcnt vmcnt(0)
	v_lshlrev_b32_e32 v16, 16, v19
	v_and_b32_e32 v15, 0xffff0000, v19
	v_lshlrev_b32_e32 v14, 16, v20
	v_and_b32_e32 v13, 0xffff0000, v20
	;; [unrolled: 2-line block ×4, first 2 shown]
.LBB35_4:
	s_or_b64 exec, exec, s[8:9]
	v_add_f32_e32 v19, v8, v9
	v_sub_f32_e32 v8, v9, v8
	v_add_f32_e32 v9, v15, v16
	v_sub_f32_e32 v15, v16, v15
	;; [unrolled: 2-line block ×17, first 2 shown]
	v_mbcnt_lo_u32_b32 v1, -1, 0
	v_mbcnt_hi_u32_b32 v1, -1, v1
	v_add_f32_e32 v11, v15, v10
	v_sub_f32_e32 v10, v10, v15
	v_add_f32_e32 v15, v14, v19
	v_sub_f32_e32 v14, v19, v14
	;; [unrolled: 2-line block ×7, first 2 shown]
	v_and_b32_e32 v2, 64, v1
	v_and_b32_e32 v19, 1, v0
	v_add_u32_e32 v2, 64, v2
	v_cmp_eq_u32_e64 s[2:3], 0, v19
	v_xor_b32_e32 v19, 1, v1
	s_load_dword s7, s[4:5], 0x20
	v_cmp_lt_i32_e64 s[4:5], v19, v2
	v_cndmask_b32_e64 v19, v1, v19, s[4:5]
	v_lshlrev_b32_e32 v19, 2, v19
	ds_bpermute_b32 v22, v19, v11
	v_cndmask_b32_e64 v11, -v11, v11, s[2:3]
	s_waitcnt lgkmcnt(0)
	s_barrier
	v_add_f32_e32 v11, v11, v22
	ds_bpermute_b32 v22, v19, v20
	v_cndmask_b32_e64 v20, -v20, v20, s[2:3]
	s_waitcnt lgkmcnt(0)
	v_add_f32_e32 v22, v20, v22
	ds_bpermute_b32 v20, v19, v8
	v_cndmask_b32_e64 v8, -v8, v8, s[2:3]
	s_waitcnt lgkmcnt(0)
	;; [unrolled: 4-line block ×15, first 2 shown]
	v_add_f32_e32 v13, v13, v20
	v_and_b32_e32 v20, 2, v0
	v_cmp_eq_u32_e64 s[4:5], 0, v20
	v_xor_b32_e32 v20, 2, v1
	v_cmp_lt_i32_e64 s[8:9], v20, v2
	v_cndmask_b32_e64 v20, v1, v20, s[8:9]
	v_lshlrev_b32_e32 v20, 2, v20
	ds_bpermute_b32 v23, v20, v11
	v_cndmask_b32_e64 v11, -v11, v11, s[4:5]
	s_waitcnt lgkmcnt(0)
	v_add_f32_e32 v11, v11, v23
	ds_bpermute_b32 v23, v20, v22
	v_cndmask_b32_e64 v22, -v22, v22, s[4:5]
	s_waitcnt lgkmcnt(0)
	v_add_f32_e32 v22, v22, v23
	;; [unrolled: 4-line block ×16, first 2 shown]
	v_and_b32_e32 v23, 4, v0
	v_cmp_eq_u32_e64 s[8:9], 0, v23
	v_xor_b32_e32 v23, 4, v1
	v_cmp_lt_i32_e64 s[10:11], v23, v2
	v_cndmask_b32_e64 v23, v1, v23, s[10:11]
	v_lshlrev_b32_e32 v23, 2, v23
	ds_bpermute_b32 v24, v23, v11
	v_cndmask_b32_e64 v11, -v11, v11, s[8:9]
	s_waitcnt lgkmcnt(0)
	v_add_f32_e32 v11, v11, v24
	ds_bpermute_b32 v24, v23, v22
	v_cndmask_b32_e64 v22, -v22, v22, s[8:9]
	s_waitcnt lgkmcnt(0)
	v_add_f32_e32 v22, v22, v24
	;; [unrolled: 4-line block ×14, first 2 shown]
	ds_bpermute_b32 v24, v23, v3
	ds_bpermute_b32 v23, v23, v13
	v_cndmask_b32_e64 v13, -v13, v13, s[8:9]
	v_cndmask_b32_e64 v3, -v3, v3, s[8:9]
	s_waitcnt lgkmcnt(1)
	v_add_f32_e32 v3, v3, v24
	s_waitcnt lgkmcnt(0)
	v_add_f32_e32 v13, v13, v23
	v_and_b32_e32 v23, 8, v0
	v_cmp_eq_u32_e64 s[8:9], 0, v23
	v_xor_b32_e32 v23, 8, v1
	v_cmp_lt_i32_e64 s[10:11], v23, v2
	v_cndmask_b32_e64 v23, v1, v23, s[10:11]
	v_lshlrev_b32_e32 v23, 2, v23
	ds_bpermute_b32 v24, v23, v11
	v_cndmask_b32_e64 v11, -v11, v11, s[8:9]
	s_waitcnt lgkmcnt(0)
	v_add_f32_e32 v11, v11, v24
	ds_bpermute_b32 v24, v23, v22
	v_cndmask_b32_e64 v22, -v22, v22, s[8:9]
	s_waitcnt lgkmcnt(0)
	v_add_f32_e32 v22, v22, v24
	;; [unrolled: 4-line block ×14, first 2 shown]
	ds_bpermute_b32 v24, v23, v3
	ds_bpermute_b32 v23, v23, v13
	v_cndmask_b32_e64 v13, -v13, v13, s[8:9]
	v_cndmask_b32_e64 v3, -v3, v3, s[8:9]
	s_waitcnt lgkmcnt(1)
	v_add_f32_e32 v3, v3, v24
	s_waitcnt lgkmcnt(0)
	v_add_f32_e32 v13, v13, v23
	v_and_b32_e32 v23, 16, v0
	v_cmp_eq_u32_e64 s[8:9], 0, v23
	v_xor_b32_e32 v23, 16, v1
	v_cmp_lt_i32_e64 s[10:11], v23, v2
	v_cndmask_b32_e64 v23, v1, v23, s[10:11]
	v_lshlrev_b32_e32 v23, 2, v23
	ds_bpermute_b32 v24, v23, v11
	v_cndmask_b32_e64 v11, -v11, v11, s[8:9]
	s_waitcnt lgkmcnt(0)
	v_add_f32_e32 v11, v11, v24
	ds_bpermute_b32 v24, v23, v22
	v_cndmask_b32_e64 v22, -v22, v22, s[8:9]
	s_waitcnt lgkmcnt(0)
	v_add_f32_e32 v22, v22, v24
	;; [unrolled: 4-line block ×16, first 2 shown]
	v_and_b32_e32 v3, 32, v0
	v_cmp_eq_u32_e64 s[8:9], 0, v3
	v_xor_b32_e32 v3, 32, v1
	v_cmp_lt_i32_e64 s[10:11], v3, v2
	v_cndmask_b32_e64 v1, v1, v3, s[10:11]
	v_lshlrev_b32_e32 v32, 2, v1
	ds_bpermute_b32 v1, v32, v11
	v_cndmask_b32_e64 v2, -v11, v11, s[8:9]
	v_cndmask_b32_e64 v3, -v9, v9, s[8:9]
	;; [unrolled: 1-line block ×4, first 2 shown]
	s_waitcnt lgkmcnt(0)
	v_add_f32_e32 v5, v2, v1
	ds_bpermute_b32 v1, v32, v22
	v_cndmask_b32_e64 v2, -v22, v22, s[8:9]
	v_and_b32_e32 v22, 3, v0
	s_waitcnt lgkmcnt(0)
	v_add_f32_e32 v6, v2, v1
	ds_bpermute_b32 v1, v32, v8
	v_cndmask_b32_e64 v2, -v8, v8, s[8:9]
	s_waitcnt lgkmcnt(0)
	v_add_f32_e32 v7, v2, v1
	ds_bpermute_b32 v1, v32, v24
	v_cndmask_b32_e64 v2, -v24, v24, s[8:9]
	;; [unrolled: 4-line block ×3, first 2 shown]
	v_cndmask_b32_e64 v10, -v29, v29, s[8:9]
	s_waitcnt lgkmcnt(0)
	v_add_f32_e32 v13, v2, v1
	ds_bpermute_b32 v1, v32, v25
	v_cndmask_b32_e64 v2, -v25, v25, s[8:9]
	s_waitcnt lgkmcnt(0)
	v_add_f32_e32 v14, v2, v1
	ds_bpermute_b32 v1, v32, v12
	v_cndmask_b32_e64 v2, -v12, v12, s[8:9]
	v_cndmask_b32_e64 v12, -v31, v31, s[8:9]
	s_waitcnt lgkmcnt(0)
	v_add_f32_e32 v15, v2, v1
	ds_bpermute_b32 v1, v32, v26
	v_cndmask_b32_e64 v2, -v26, v26, s[8:9]
	s_waitcnt lgkmcnt(0)
	v_add_f32_e32 v16, v2, v1
	ds_bpermute_b32 v1, v32, v27
	v_cndmask_b32_e64 v2, -v27, v27, s[8:9]
	s_waitcnt lgkmcnt(0)
	v_add_f32_e32 v1, v2, v1
	ds_bpermute_b32 v2, v32, v9
	v_cndmask_b32_e64 v9, -v21, v21, s[8:9]
	s_waitcnt lgkmcnt(0)
	v_add_f32_e32 v2, v3, v2
	ds_bpermute_b32 v3, v32, v28
	s_waitcnt lgkmcnt(0)
	v_add_f32_e32 v3, v4, v3
	ds_bpermute_b32 v4, v32, v21
	v_cndmask_b32_e64 v21, -v23, v23, s[8:9]
	s_waitcnt lgkmcnt(0)
	v_add_f32_e32 v4, v9, v4
	ds_bpermute_b32 v9, v32, v29
	s_waitcnt lgkmcnt(0)
	v_add_f32_e32 v9, v10, v9
	ds_bpermute_b32 v10, v32, v30
	;; [unrolled: 3-line block ×4, first 2 shown]
	v_lshrrev_b32_e32 v23, 2, v0
	s_waitcnt lgkmcnt(0)
	v_add_f32_e32 v12, v21, v12
	v_lshrrev_b32_e32 v21, 6, v0
	v_xor_b32_e32 v0, v21, v0
	v_lshl_add_u32 v21, v0, 4, 0
	v_lshl_or_b32 v0, v22, 6, v23
	v_xor_b32_e32 v0, v0, v22
	ds_write_b128 v21, v[5:8]
	ds_write_b128 v21, v[13:16] offset:4096
	ds_write_b128 v21, v[1:4] offset:8192
	;; [unrolled: 1-line block ×3, first 2 shown]
	v_lshl_add_u32 v16, v0, 4, 0
	s_waitcnt lgkmcnt(0)
	s_barrier
	ds_read_b128 v[0:3], v16
	ds_read_b128 v[4:7], v16 offset:4096
	ds_read_b128 v[8:11], v16 offset:8192
	;; [unrolled: 1-line block ×3, first 2 shown]
	s_waitcnt lgkmcnt(0)
	ds_bpermute_b32 v22, v19, v0
	v_cndmask_b32_e64 v0, -v0, v0, s[2:3]
	s_waitcnt lgkmcnt(0)
	s_barrier
	v_add_f32_e32 v0, v0, v22
	ds_bpermute_b32 v22, v19, v1
	v_cndmask_b32_e64 v1, -v1, v1, s[2:3]
	s_waitcnt lgkmcnt(0)
	v_add_f32_e32 v1, v1, v22
	ds_bpermute_b32 v22, v19, v2
	v_cndmask_b32_e64 v2, -v2, v2, s[2:3]
	s_waitcnt lgkmcnt(0)
	;; [unrolled: 4-line block ×13, first 2 shown]
	v_add_f32_e32 v13, v13, v22
	ds_bpermute_b32 v22, v19, v14
	ds_bpermute_b32 v19, v19, v15
	v_cndmask_b32_e64 v15, -v15, v15, s[2:3]
	v_cndmask_b32_e64 v14, -v14, v14, s[2:3]
	s_mul_i32 s2, s18, s20
	s_waitcnt lgkmcnt(1)
	v_add_f32_e32 v14, v14, v22
	s_waitcnt lgkmcnt(0)
	v_add_f32_e32 v15, v15, v19
	ds_bpermute_b32 v19, v20, v0
	v_cndmask_b32_e64 v0, -v0, v0, s[4:5]
	s_mul_hi_u32 s3, s18, s6
	s_add_i32 s2, s3, s2
	s_mul_i32 s3, s19, s6
	s_waitcnt lgkmcnt(0)
	v_add_f32_e32 v0, v0, v19
	ds_bpermute_b32 v19, v20, v1
	v_cndmask_b32_e64 v1, -v1, v1, s[4:5]
	s_add_i32 s3, s2, s3
	s_mul_i32 s2, s18, s6
	s_lshl_b64 s[2:3], s[2:3], 1
	s_waitcnt lgkmcnt(0)
	v_add_f32_e32 v1, v1, v19
	ds_bpermute_b32 v19, v20, v2
	v_cndmask_b32_e64 v2, -v2, v2, s[4:5]
	s_add_u32 s2, s14, s2
	s_addc_u32 s3, s15, s3
	s_waitcnt lgkmcnt(0)
	v_add_f32_e32 v2, v2, v19
	ds_bpermute_b32 v19, v20, v3
	v_cndmask_b32_e64 v3, -v3, v3, s[4:5]
	s_waitcnt lgkmcnt(0)
	v_add_f32_e32 v3, v3, v19
	ds_bpermute_b32 v19, v20, v4
	v_cndmask_b32_e64 v4, -v4, v4, s[4:5]
	;; [unrolled: 4-line block ×13, first 2 shown]
	s_waitcnt lgkmcnt(0)
	v_add_f32_e32 v15, v15, v19
	ds_write_b128 v16, v[0:3]
	ds_write_b128 v16, v[4:7] offset:4096
	ds_write_b128 v16, v[8:11] offset:8192
	;; [unrolled: 1-line block ×3, first 2 shown]
	s_waitcnt lgkmcnt(0)
	s_barrier
	ds_read_b128 v[8:11], v21
	ds_read_b128 v[12:15], v21 offset:8192
	ds_read_b128 v[0:3], v21 offset:4096
	;; [unrolled: 1-line block ×3, first 2 shown]
	s_and_saveexec_b64 s[4:5], s[0:1]
	s_cbranch_execnz .LBB35_7
; %bb.5:
	s_or_b64 exec, exec, s[4:5]
	s_and_saveexec_b64 s[0:1], vcc
	s_cbranch_execnz .LBB35_8
.LBB35_6:
	s_endpgm
.LBB35_7:
	s_waitcnt lgkmcnt(0)
	v_add_f32_e32 v16, v3, v7
	v_mul_f32_e32 v16, s7, v16
	v_add_f32_e32 v19, v2, v6
	v_bfe_u32 v23, v16, 16, 1
	s_movk_i32 s6, 0x7fff
	v_add3_u32 v23, v23, v16, s6
	v_or_b32_e32 v24, 0x400000, v16
	v_cmp_u_f32_e64 s[0:1], v16, v16
	v_mul_f32_e32 v19, s7, v19
	v_add_f32_e32 v20, v1, v5
	v_cndmask_b32_e64 v16, v23, v24, s[0:1]
	v_bfe_u32 v23, v19, 16, 1
	v_add3_u32 v23, v23, v19, s6
	v_or_b32_e32 v24, 0x400000, v19
	v_cmp_u_f32_e64 s[0:1], v19, v19
	v_mul_f32_e32 v20, s7, v20
	v_add_f32_e32 v21, v0, v4
	v_cndmask_b32_e64 v19, v23, v24, s[0:1]
	v_bfe_u32 v23, v20, 16, 1
	v_add3_u32 v23, v23, v20, s6
	v_or_b32_e32 v24, 0x400000, v20
	v_cmp_u_f32_e64 s[0:1], v20, v20
	v_mul_f32_e32 v21, s7, v21
	v_cndmask_b32_e64 v20, v23, v24, s[0:1]
	v_bfe_u32 v23, v21, 16, 1
	v_add_f32_e32 v22, v11, v15
	v_add3_u32 v23, v23, v21, s6
	v_or_b32_e32 v24, 0x400000, v21
	v_cmp_u_f32_e64 s[0:1], v21, v21
	v_cndmask_b32_e64 v21, v23, v24, s[0:1]
	v_mul_f32_e32 v23, s7, v22
	s_mov_b32 s8, 0x7060302
	v_perm_b32 v22, v16, v19, s8
	v_bfe_u32 v16, v23, 16, 1
	v_perm_b32 v21, v20, v21, s8
	v_add3_u32 v16, v16, v23, s6
	v_or_b32_e32 v19, 0x400000, v23
	v_cmp_u_f32_e64 s[0:1], v23, v23
	v_add_f32_e32 v20, v10, v14
	v_cndmask_b32_e64 v16, v16, v19, s[0:1]
	v_mul_f32_e32 v19, s7, v20
	v_bfe_u32 v20, v19, 16, 1
	v_add3_u32 v20, v20, v19, s6
	v_or_b32_e32 v23, 0x400000, v19
	v_cmp_u_f32_e64 s[0:1], v19, v19
	v_cndmask_b32_e64 v19, v20, v23, s[0:1]
	v_add_f32_e32 v20, v9, v13
	v_mul_f32_e32 v23, s7, v20
	v_perm_b32 v20, v16, v19, s8
	v_bfe_u32 v16, v23, 16, 1
	v_add3_u32 v16, v16, v23, s6
	v_or_b32_e32 v19, 0x400000, v23
	v_cmp_u_f32_e64 s[0:1], v23, v23
	v_add_f32_e32 v23, v8, v12
	v_cndmask_b32_e64 v16, v16, v19, s[0:1]
	v_mul_f32_e32 v19, s7, v23
	v_bfe_u32 v23, v19, 16, 1
	v_add3_u32 v23, v23, v19, s6
	v_or_b32_e32 v24, 0x400000, v19
	v_cmp_u_f32_e64 s[0:1], v19, v19
	v_cndmask_b32_e64 v19, v23, v24, s[0:1]
	v_perm_b32 v19, v16, v19, s8
	global_store_dwordx4 v18, v[19:22], s[2:3]
	s_or_b64 exec, exec, s[4:5]
	s_and_saveexec_b64 s[0:1], vcc
	s_cbranch_execz .LBB35_6
.LBB35_8:
	s_waitcnt lgkmcnt(2)
	v_sub_f32_e32 v8, v8, v12
	v_mul_f32_e32 v8, s7, v8
	v_sub_f32_e32 v9, v9, v13
	v_bfe_u32 v12, v8, 16, 1
	s_movk_i32 s0, 0x7fff
	v_mul_f32_e32 v9, s7, v9
	v_add3_u32 v12, v12, v8, s0
	v_or_b32_e32 v13, 0x400000, v8
	v_cmp_u_f32_e32 vcc, v8, v8
	v_cndmask_b32_e32 v8, v12, v13, vcc
	v_bfe_u32 v12, v9, 16, 1
	v_sub_f32_e32 v10, v10, v14
	v_add3_u32 v12, v12, v9, s0
	v_or_b32_e32 v13, 0x400000, v9
	v_cmp_u_f32_e32 vcc, v9, v9
	v_mul_f32_e32 v10, s7, v10
	v_cndmask_b32_e32 v9, v12, v13, vcc
	v_sub_f32_e32 v11, v11, v15
	v_bfe_u32 v12, v10, 16, 1
	v_mul_f32_e32 v11, s7, v11
	v_add3_u32 v12, v12, v10, s0
	v_or_b32_e32 v13, 0x400000, v10
	v_cmp_u_f32_e32 vcc, v10, v10
	s_waitcnt lgkmcnt(0)
	v_sub_f32_e32 v0, v0, v4
	v_cndmask_b32_e32 v10, v12, v13, vcc
	v_bfe_u32 v12, v11, 16, 1
	v_mul_f32_e32 v0, s7, v0
	v_add3_u32 v12, v12, v11, s0
	v_or_b32_e32 v13, 0x400000, v11
	v_cmp_u_f32_e32 vcc, v11, v11
	v_sub_f32_e32 v1, v1, v5
	v_bfe_u32 v4, v0, 16, 1
	v_cndmask_b32_e32 v11, v12, v13, vcc
	v_mul_f32_e32 v1, s7, v1
	v_add3_u32 v4, v4, v0, s0
	v_or_b32_e32 v5, 0x400000, v0
	v_cmp_u_f32_e32 vcc, v0, v0
	v_cndmask_b32_e32 v0, v4, v5, vcc
	v_bfe_u32 v4, v1, 16, 1
	v_sub_f32_e32 v2, v2, v6
	v_add3_u32 v4, v4, v1, s0
	v_or_b32_e32 v5, 0x400000, v1
	v_cmp_u_f32_e32 vcc, v1, v1
	v_mul_f32_e32 v2, s7, v2
	v_cndmask_b32_e32 v1, v4, v5, vcc
	v_sub_f32_e32 v3, v3, v7
	v_bfe_u32 v4, v2, 16, 1
	v_mul_f32_e32 v3, s7, v3
	v_add3_u32 v4, v4, v2, s0
	v_or_b32_e32 v5, 0x400000, v2
	v_cmp_u_f32_e32 vcc, v2, v2
	v_cndmask_b32_e32 v2, v4, v5, vcc
	v_bfe_u32 v4, v3, 16, 1
	v_add3_u32 v4, v4, v3, s0
	v_or_b32_e32 v5, 0x400000, v3
	v_cmp_u_f32_e32 vcc, v3, v3
	v_cndmask_b32_e32 v3, v4, v5, vcc
	s_mov_b32 s0, 0x7060302
	v_perm_b32 v3, v3, v2, s0
	v_perm_b32 v2, v1, v0, s0
	;; [unrolled: 1-line block ×4, first 2 shown]
	global_store_dwordx4 v17, v[0:3], s[2:3]
	s_endpgm
	.section	.rodata,"a",@progbits
	.p2align	6, 0x0
	.amdhsa_kernel _Z30fast_hadamard_transform_kernelI37fast_hadamard_transform_kernel_traitsILi256ELi12E14__hip_bfloat16EEv18HadamardParamsBase
		.amdhsa_group_segment_fixed_size 0
		.amdhsa_private_segment_fixed_size 0
		.amdhsa_kernarg_size 312
		.amdhsa_user_sgpr_count 6
		.amdhsa_user_sgpr_private_segment_buffer 1
		.amdhsa_user_sgpr_dispatch_ptr 0
		.amdhsa_user_sgpr_queue_ptr 0
		.amdhsa_user_sgpr_kernarg_segment_ptr 1
		.amdhsa_user_sgpr_dispatch_id 0
		.amdhsa_user_sgpr_flat_scratch_init 0
		.amdhsa_user_sgpr_private_segment_size 0
		.amdhsa_uses_dynamic_stack 0
		.amdhsa_system_sgpr_private_segment_wavefront_offset 0
		.amdhsa_system_sgpr_workgroup_id_x 1
		.amdhsa_system_sgpr_workgroup_id_y 0
		.amdhsa_system_sgpr_workgroup_id_z 0
		.amdhsa_system_sgpr_workgroup_info 0
		.amdhsa_system_vgpr_workitem_id 0
		.amdhsa_next_free_vgpr 33
		.amdhsa_next_free_sgpr 21
		.amdhsa_reserve_vcc 1
		.amdhsa_reserve_flat_scratch 0
		.amdhsa_float_round_mode_32 0
		.amdhsa_float_round_mode_16_64 0
		.amdhsa_float_denorm_mode_32 3
		.amdhsa_float_denorm_mode_16_64 3
		.amdhsa_dx10_clamp 1
		.amdhsa_ieee_mode 1
		.amdhsa_fp16_overflow 0
		.amdhsa_exception_fp_ieee_invalid_op 0
		.amdhsa_exception_fp_denorm_src 0
		.amdhsa_exception_fp_ieee_div_zero 0
		.amdhsa_exception_fp_ieee_overflow 0
		.amdhsa_exception_fp_ieee_underflow 0
		.amdhsa_exception_fp_ieee_inexact 0
		.amdhsa_exception_int_div_zero 0
	.end_amdhsa_kernel
	.section	.text._Z30fast_hadamard_transform_kernelI37fast_hadamard_transform_kernel_traitsILi256ELi12E14__hip_bfloat16EEv18HadamardParamsBase,"axG",@progbits,_Z30fast_hadamard_transform_kernelI37fast_hadamard_transform_kernel_traitsILi256ELi12E14__hip_bfloat16EEv18HadamardParamsBase,comdat
.Lfunc_end35:
	.size	_Z30fast_hadamard_transform_kernelI37fast_hadamard_transform_kernel_traitsILi256ELi12E14__hip_bfloat16EEv18HadamardParamsBase, .Lfunc_end35-_Z30fast_hadamard_transform_kernelI37fast_hadamard_transform_kernel_traitsILi256ELi12E14__hip_bfloat16EEv18HadamardParamsBase
                                        ; -- End function
	.set _Z30fast_hadamard_transform_kernelI37fast_hadamard_transform_kernel_traitsILi256ELi12E14__hip_bfloat16EEv18HadamardParamsBase.num_vgpr, 33
	.set _Z30fast_hadamard_transform_kernelI37fast_hadamard_transform_kernel_traitsILi256ELi12E14__hip_bfloat16EEv18HadamardParamsBase.num_agpr, 0
	.set _Z30fast_hadamard_transform_kernelI37fast_hadamard_transform_kernel_traitsILi256ELi12E14__hip_bfloat16EEv18HadamardParamsBase.numbered_sgpr, 21
	.set _Z30fast_hadamard_transform_kernelI37fast_hadamard_transform_kernel_traitsILi256ELi12E14__hip_bfloat16EEv18HadamardParamsBase.num_named_barrier, 0
	.set _Z30fast_hadamard_transform_kernelI37fast_hadamard_transform_kernel_traitsILi256ELi12E14__hip_bfloat16EEv18HadamardParamsBase.private_seg_size, 0
	.set _Z30fast_hadamard_transform_kernelI37fast_hadamard_transform_kernel_traitsILi256ELi12E14__hip_bfloat16EEv18HadamardParamsBase.uses_vcc, 1
	.set _Z30fast_hadamard_transform_kernelI37fast_hadamard_transform_kernel_traitsILi256ELi12E14__hip_bfloat16EEv18HadamardParamsBase.uses_flat_scratch, 0
	.set _Z30fast_hadamard_transform_kernelI37fast_hadamard_transform_kernel_traitsILi256ELi12E14__hip_bfloat16EEv18HadamardParamsBase.has_dyn_sized_stack, 0
	.set _Z30fast_hadamard_transform_kernelI37fast_hadamard_transform_kernel_traitsILi256ELi12E14__hip_bfloat16EEv18HadamardParamsBase.has_recursion, 0
	.set _Z30fast_hadamard_transform_kernelI37fast_hadamard_transform_kernel_traitsILi256ELi12E14__hip_bfloat16EEv18HadamardParamsBase.has_indirect_call, 0
	.section	.AMDGPU.csdata,"",@progbits
; Kernel info:
; codeLenInByte = 4932
; TotalNumSgprs: 25
; NumVgprs: 33
; ScratchSize: 0
; MemoryBound: 0
; FloatMode: 240
; IeeeMode: 1
; LDSByteSize: 0 bytes/workgroup (compile time only)
; SGPRBlocks: 3
; VGPRBlocks: 8
; NumSGPRsForWavesPerEU: 25
; NumVGPRsForWavesPerEU: 33
; Occupancy: 7
; WaveLimiterHint : 0
; COMPUTE_PGM_RSRC2:SCRATCH_EN: 0
; COMPUTE_PGM_RSRC2:USER_SGPR: 6
; COMPUTE_PGM_RSRC2:TRAP_HANDLER: 0
; COMPUTE_PGM_RSRC2:TGID_X_EN: 1
; COMPUTE_PGM_RSRC2:TGID_Y_EN: 0
; COMPUTE_PGM_RSRC2:TGID_Z_EN: 0
; COMPUTE_PGM_RSRC2:TIDIG_COMP_CNT: 0
	.section	.text._Z30fast_hadamard_transform_kernelI37fast_hadamard_transform_kernel_traitsILi256ELi13E14__hip_bfloat16EEv18HadamardParamsBase,"axG",@progbits,_Z30fast_hadamard_transform_kernelI37fast_hadamard_transform_kernel_traitsILi256ELi13E14__hip_bfloat16EEv18HadamardParamsBase,comdat
	.protected	_Z30fast_hadamard_transform_kernelI37fast_hadamard_transform_kernel_traitsILi256ELi13E14__hip_bfloat16EEv18HadamardParamsBase ; -- Begin function _Z30fast_hadamard_transform_kernelI37fast_hadamard_transform_kernel_traitsILi256ELi13E14__hip_bfloat16EEv18HadamardParamsBase
	.globl	_Z30fast_hadamard_transform_kernelI37fast_hadamard_transform_kernel_traitsILi256ELi13E14__hip_bfloat16EEv18HadamardParamsBase
	.p2align	8
	.type	_Z30fast_hadamard_transform_kernelI37fast_hadamard_transform_kernel_traitsILi256ELi13E14__hip_bfloat16EEv18HadamardParamsBase,@function
_Z30fast_hadamard_transform_kernelI37fast_hadamard_transform_kernel_traitsILi256ELi13E14__hip_bfloat16EEv18HadamardParamsBase: ; @_Z30fast_hadamard_transform_kernelI37fast_hadamard_transform_kernel_traitsILi256ELi13E14__hip_bfloat16EEv18HadamardParamsBase
; %bb.0:
	s_load_dwordx4 s[20:23], s[4:5], 0x10
	s_load_dword s14, s[4:5], 0x4
	s_load_dwordx4 s[16:19], s[4:5], 0x28
	s_ashr_i32 s7, s6, 31
	s_load_dword s2, s[4:5], 0x44
	s_waitcnt lgkmcnt(0)
	s_mul_hi_u32 s0, s20, s6
	s_mul_i32 s1, s20, s7
	s_add_i32 s0, s0, s1
	s_mul_i32 s1, s21, s6
	s_add_i32 s1, s0, s1
	s_mul_i32 s0, s20, s6
	s_lshl_b64 s[0:1], s[0:1], 1
	s_add_u32 s8, s16, s0
	v_lshlrev_b32_e32 v1, 3, v0
	s_addc_u32 s9, s17, s1
	v_cmp_gt_u32_e64 s[12:13], s14, v1
	v_mov_b32_e32 v1, 0
	v_lshlrev_b32_e32 v35, 4, v0
	v_mov_b32_e32 v2, 0
	v_mov_b32_e32 v3, 0
	;; [unrolled: 1-line block ×8, first 2 shown]
	s_and_saveexec_b64 s[0:1], s[12:13]
	s_cbranch_execz .LBB36_2
; %bb.1:
	global_load_dwordx4 v[11:14], v35, s[8:9]
	s_waitcnt vmcnt(0)
	v_lshlrev_b32_e32 v10, 16, v11
	v_and_b32_e32 v9, 0xffff0000, v11
	v_lshlrev_b32_e32 v7, 16, v12
	v_and_b32_e32 v6, 0xffff0000, v12
	;; [unrolled: 2-line block ×4, first 2 shown]
.LBB36_2:
	s_or_b64 exec, exec, s[0:1]
	s_and_b32 s15, 0xffff, s2
	v_add_u32_e32 v15, s15, v0
	v_lshlrev_b32_e32 v8, 3, v15
	v_cmp_gt_u32_e64 s[2:3], s14, v8
	v_lshlrev_b32_e32 v34, 4, v15
	v_mov_b32_e32 v8, 0
	v_mov_b32_e32 v11, 0
	;; [unrolled: 1-line block ×7, first 2 shown]
	s_and_saveexec_b64 s[0:1], s[2:3]
	s_cbranch_execz .LBB36_4
; %bb.3:
	global_load_dwordx4 v[20:23], v34, s[8:9]
	s_waitcnt vmcnt(0)
	v_lshlrev_b32_e32 v19, 16, v20
	v_and_b32_e32 v18, 0xffff0000, v20
	v_lshlrev_b32_e32 v14, 16, v21
	v_and_b32_e32 v13, 0xffff0000, v21
	;; [unrolled: 2-line block ×4, first 2 shown]
.LBB36_4:
	s_or_b64 exec, exec, s[0:1]
	v_add_u32_e32 v24, s15, v15
	v_lshlrev_b32_e32 v15, 3, v24
	v_cmp_gt_u32_e64 s[0:1], s14, v15
	v_mov_b32_e32 v15, 0
	v_lshlrev_b32_e32 v33, 4, v24
	v_mov_b32_e32 v16, 0
	v_mov_b32_e32 v17, 0
	;; [unrolled: 1-line block ×8, first 2 shown]
	s_and_saveexec_b64 s[10:11], s[0:1]
	s_cbranch_execz .LBB36_6
; %bb.5:
	global_load_dwordx4 v[27:30], v33, s[8:9]
	s_waitcnt vmcnt(0)
	v_lshlrev_b32_e32 v26, 16, v27
	v_and_b32_e32 v25, 0xffff0000, v27
	v_lshlrev_b32_e32 v23, 16, v28
	v_and_b32_e32 v22, 0xffff0000, v28
	;; [unrolled: 2-line block ×4, first 2 shown]
.LBB36_6:
	s_or_b64 exec, exec, s[10:11]
	v_add_u32_e32 v24, s15, v24
	v_lshlrev_b32_e32 v27, 3, v24
	v_cmp_gt_u32_e32 vcc, s14, v27
	v_lshlrev_b32_e32 v32, 4, v24
	v_mov_b32_e32 v24, 0
	v_mov_b32_e32 v27, 0
	;; [unrolled: 1-line block ×7, first 2 shown]
	s_and_saveexec_b64 s[10:11], vcc
	s_cbranch_execz .LBB36_8
; %bb.7:
	global_load_dwordx4 v[37:40], v32, s[8:9]
	s_waitcnt vmcnt(0)
	v_lshlrev_b32_e32 v36, 16, v37
	v_and_b32_e32 v31, 0xffff0000, v37
	v_lshlrev_b32_e32 v30, 16, v38
	v_and_b32_e32 v29, 0xffff0000, v38
	;; [unrolled: 2-line block ×4, first 2 shown]
.LBB36_8:
	s_or_b64 exec, exec, s[10:11]
	v_add_f32_e32 v37, v9, v10
	v_sub_f32_e32 v9, v10, v9
	v_add_f32_e32 v10, v18, v19
	v_sub_f32_e32 v18, v19, v18
	;; [unrolled: 2-line block ×31, first 2 shown]
	v_mbcnt_lo_u32_b32 v1, -1, 0
	v_add_f32_e32 v11, v16, v20
	v_sub_f32_e32 v16, v20, v16
	v_add_f32_e32 v20, v15, v27
	v_mbcnt_hi_u32_b32 v1, -1, v1
	v_add_f32_e32 v38, v4, v9
	v_sub_f32_e32 v4, v9, v4
	v_add_f32_e32 v9, v11, v18
	v_sub_f32_e32 v11, v18, v11
	;; [unrolled: 2-line block ×8, first 2 shown]
	v_and_b32_e32 v2, 64, v1
	v_sub_f32_e32 v15, v27, v15
	v_add_f32_e32 v27, v31, v24
	v_sub_f32_e32 v24, v24, v31
	v_add_f32_e32 v31, v30, v37
	;; [unrolled: 2-line block ×5, first 2 shown]
	v_sub_f32_e32 v26, v26, v21
	v_add_u32_e32 v2, 64, v2
	v_xor_b32_e32 v21, 1, v1
	s_load_dword s16, s[4:5], 0x20
	v_cmp_lt_i32_e64 s[4:5], v21, v2
	v_cndmask_b32_e64 v21, v1, v21, s[4:5]
	v_lshlrev_b32_e32 v21, 2, v21
	v_add_f32_e32 v40, v16, v22
	v_sub_f32_e32 v16, v22, v16
	v_add_f32_e32 v22, v15, v29
	v_sub_f32_e32 v15, v29, v15
	ds_bpermute_b32 v29, v21, v27
	v_and_b32_e32 v41, 1, v0
	v_cmp_eq_u32_e64 s[14:15], 0, v41
	v_cndmask_b32_e64 v27, -v27, v27, s[14:15]
	ds_bpermute_b32 v41, v21, v23
	s_waitcnt lgkmcnt(0)
	v_add_f32_e32 v27, v27, v29
	ds_bpermute_b32 v29, v21, v25
	v_cndmask_b32_e64 v25, -v25, v25, s[14:15]
	v_cndmask_b32_e64 v23, -v23, v23, s[14:15]
	v_add_f32_e32 v23, v23, v41
	ds_bpermute_b32 v41, v21, v26
	s_waitcnt lgkmcnt(1)
	v_add_f32_e32 v25, v25, v29
	ds_bpermute_b32 v29, v21, v24
	v_cndmask_b32_e64 v24, -v24, v24, s[14:15]
	v_cndmask_b32_e64 v26, -v26, v26, s[14:15]
	s_waitcnt lgkmcnt(1)
	v_add_f32_e32 v26, v26, v41
	ds_bpermute_b32 v41, v21, v6
	s_waitcnt lgkmcnt(1)
	v_add_f32_e32 v24, v24, v29
	ds_bpermute_b32 v29, v21, v28
	v_cndmask_b32_e64 v28, -v28, v28, s[14:15]
	v_cndmask_b32_e64 v6, -v6, v6, s[14:15]
	s_waitcnt lgkmcnt(1)
	;; [unrolled: 8-line block ×12, first 2 shown]
	v_add_f32_e32 v41, v22, v41
	ds_bpermute_b32 v22, v21, v20
	s_waitcnt lgkmcnt(1)
	v_add_f32_e32 v14, v14, v37
	ds_bpermute_b32 v37, v21, v12
	ds_bpermute_b32 v42, v21, v19
	v_cndmask_b32_e64 v12, -v12, v12, s[14:15]
	v_cndmask_b32_e64 v20, -v20, v20, s[14:15]
	;; [unrolled: 1-line block ×3, first 2 shown]
	s_waitcnt lgkmcnt(1)
	v_add_f32_e32 v12, v12, v37
	ds_bpermute_b32 v37, v21, v17
	v_add_f32_e32 v20, v20, v22
	v_xor_b32_e32 v22, 2, v1
	s_waitcnt lgkmcnt(1)
	v_add_f32_e32 v19, v19, v42
	ds_bpermute_b32 v42, v21, v15
	v_cmp_lt_i32_e64 s[4:5], v22, v2
	v_cndmask_b32_e64 v22, v1, v22, s[4:5]
	v_cndmask_b32_e64 v17, -v17, v17, s[14:15]
	v_lshlrev_b32_e32 v22, 2, v22
	s_waitcnt lgkmcnt(1)
	v_add_f32_e32 v17, v17, v37
	ds_bpermute_b32 v37, v22, v27
	v_cndmask_b32_e64 v15, -v15, v15, s[14:15]
	s_waitcnt lgkmcnt(1)
	v_add_f32_e32 v15, v15, v42
	v_and_b32_e32 v42, 2, v0
	v_cmp_eq_u32_e64 s[8:9], 0, v42
	v_cndmask_b32_e64 v27, -v27, v27, s[8:9]
	s_waitcnt lgkmcnt(0)
	v_add_f32_e32 v27, v27, v37
	ds_bpermute_b32 v37, v22, v25
	v_cndmask_b32_e64 v25, -v25, v25, s[8:9]
	ds_bpermute_b32 v42, v22, v23
	v_cndmask_b32_e64 v23, -v23, v23, s[8:9]
	ds_bpermute_b32 v43, v22, v19
	s_waitcnt lgkmcnt(2)
	v_add_f32_e32 v25, v25, v37
	ds_bpermute_b32 v37, v22, v24
	v_cndmask_b32_e64 v24, -v24, v24, s[8:9]
	s_waitcnt lgkmcnt(2)
	v_add_f32_e32 v23, v23, v42
	ds_bpermute_b32 v42, v22, v26
	v_cndmask_b32_e64 v26, -v26, v26, s[8:9]
	;; [unrolled: 4-line block ×27, first 2 shown]
	v_add_f32_e32 v19, v19, v43
	ds_bpermute_b32 v43, v22, v15
	v_cndmask_b32_e64 v20, -v20, v20, s[8:9]
	s_waitcnt lgkmcnt(1)
	v_add_f32_e32 v17, v17, v37
	v_xor_b32_e32 v37, 4, v1
	v_cmp_lt_i32_e64 s[4:5], v37, v2
	v_cndmask_b32_e64 v37, v1, v37, s[4:5]
	v_lshlrev_b32_e32 v37, 2, v37
	v_add_f32_e32 v20, v20, v42
	ds_bpermute_b32 v42, v37, v27
	v_cndmask_b32_e64 v15, -v15, v15, s[8:9]
	s_waitcnt lgkmcnt(1)
	v_add_f32_e32 v15, v15, v43
	v_and_b32_e32 v43, 4, v0
	v_cmp_eq_u32_e64 s[4:5], 0, v43
	v_cndmask_b32_e64 v27, -v27, v27, s[4:5]
	s_waitcnt lgkmcnt(0)
	v_add_f32_e32 v27, v27, v42
	ds_bpermute_b32 v42, v37, v25
	v_cndmask_b32_e64 v25, -v25, v25, s[4:5]
	ds_bpermute_b32 v43, v37, v23
	v_cndmask_b32_e64 v23, -v23, v23, s[4:5]
	ds_bpermute_b32 v44, v37, v19
	s_waitcnt lgkmcnt(2)
	v_add_f32_e32 v25, v25, v42
	ds_bpermute_b32 v42, v37, v24
	v_cndmask_b32_e64 v24, -v24, v24, s[4:5]
	s_waitcnt lgkmcnt(2)
	v_add_f32_e32 v23, v23, v43
	ds_bpermute_b32 v43, v37, v26
	v_cndmask_b32_e64 v26, -v26, v26, s[4:5]
	;; [unrolled: 4-line block ×26, first 2 shown]
	s_waitcnt lgkmcnt(1)
	v_add_f32_e32 v12, v12, v42
	ds_bpermute_b32 v42, v37, v17
	ds_bpermute_b32 v37, v37, v15
	v_cndmask_b32_e64 v15, -v15, v15, s[4:5]
	v_cndmask_b32_e64 v20, -v20, v20, s[4:5]
	;; [unrolled: 1-line block ×3, first 2 shown]
	s_waitcnt lgkmcnt(1)
	v_add_f32_e32 v17, v17, v42
	s_waitcnt lgkmcnt(0)
	v_add_f32_e32 v15, v15, v37
	v_xor_b32_e32 v37, 8, v1
	v_cmp_lt_i32_e64 s[4:5], v37, v2
	v_cndmask_b32_e64 v37, v1, v37, s[4:5]
	v_lshlrev_b32_e32 v37, 2, v37
	ds_bpermute_b32 v42, v37, v27
	v_add_f32_e32 v20, v20, v43
	v_and_b32_e32 v43, 8, v0
	v_cmp_eq_u32_e64 s[4:5], 0, v43
	v_cndmask_b32_e64 v27, -v27, v27, s[4:5]
	s_waitcnt lgkmcnt(0)
	v_add_f32_e32 v27, v27, v42
	ds_bpermute_b32 v42, v37, v25
	ds_bpermute_b32 v43, v37, v23
	v_cndmask_b32_e64 v25, -v25, v25, s[4:5]
	v_cndmask_b32_e64 v23, -v23, v23, s[4:5]
	v_add_f32_e32 v19, v19, v44
	s_waitcnt lgkmcnt(1)
	v_add_f32_e32 v25, v25, v42
	ds_bpermute_b32 v42, v37, v24
	s_waitcnt lgkmcnt(1)
	v_add_f32_e32 v23, v23, v43
	ds_bpermute_b32 v43, v37, v26
	v_cndmask_b32_e64 v24, -v24, v24, s[4:5]
	v_cndmask_b32_e64 v26, -v26, v26, s[4:5]
	s_waitcnt lgkmcnt(1)
	v_add_f32_e32 v24, v24, v42
	ds_bpermute_b32 v42, v37, v28
	s_waitcnt lgkmcnt(1)
	v_add_f32_e32 v26, v26, v43
	ds_bpermute_b32 v43, v37, v6
	v_cndmask_b32_e64 v28, -v28, v28, s[4:5]
	v_cndmask_b32_e64 v6, -v6, v6, s[4:5]
	;; [unrolled: 8-line block ×5, first 2 shown]
	s_waitcnt lgkmcnt(1)
	v_add_f32_e32 v30, v30, v42
	ds_bpermute_b32 v42, v37, v3
	ds_bpermute_b32 v44, v37, v19
	s_waitcnt lgkmcnt(2)
	v_add_f32_e32 v4, v4, v6
	ds_bpermute_b32 v6, v37, v13
	v_cndmask_b32_e64 v3, -v3, v3, s[4:5]
	s_waitcnt lgkmcnt(2)
	v_add_f32_e32 v3, v3, v42
	ds_bpermute_b32 v42, v37, v36
	v_cndmask_b32_e64 v19, -v19, v19, s[4:5]
	v_cndmask_b32_e64 v13, -v13, v13, s[4:5]
	s_waitcnt lgkmcnt(2)
	v_add_f32_e32 v19, v19, v44
	s_waitcnt lgkmcnt(1)
	v_add_f32_e32 v44, v13, v6
	ds_bpermute_b32 v6, v37, v9
	v_cndmask_b32_e64 v13, -v36, v36, s[4:5]
	s_waitcnt lgkmcnt(1)
	v_add_f32_e32 v36, v13, v42
	ds_bpermute_b32 v13, v37, v7
	v_cndmask_b32_e64 v9, -v9, v9, s[4:5]
	;; [unrolled: 4-line block ×12, first 2 shown]
	s_waitcnt lgkmcnt(1)
	v_add_f32_e32 v41, v8, v6
	v_cndmask_b32_e64 v6, -v12, v12, s[4:5]
	ds_bpermute_b32 v8, v37, v20
	s_waitcnt lgkmcnt(1)
	v_add_f32_e32 v52, v6, v7
	ds_bpermute_b32 v6, v37, v17
	ds_bpermute_b32 v9, v37, v15
	v_cndmask_b32_e64 v7, -v20, v20, s[4:5]
	s_waitcnt lgkmcnt(2)
	v_add_f32_e32 v53, v7, v8
	v_cndmask_b32_e64 v7, -v17, v17, s[4:5]
	s_waitcnt lgkmcnt(1)
	v_add_f32_e32 v54, v7, v6
	;; [unrolled: 3-line block ×3, first 2 shown]
	v_xor_b32_e32 v6, 16, v1
	v_cmp_lt_i32_e64 s[4:5], v6, v2
	v_cndmask_b32_e64 v6, v1, v6, s[4:5]
	v_lshlrev_b32_e32 v56, 2, v6
	ds_bpermute_b32 v6, v56, v27
	v_and_b32_e32 v7, 16, v0
	v_cmp_eq_u32_e64 s[4:5], 0, v7
	ds_bpermute_b32 v8, v56, v19
	v_cndmask_b32_e64 v7, -v27, v27, s[4:5]
	s_waitcnt lgkmcnt(1)
	v_add_f32_e32 v57, v7, v6
	ds_bpermute_b32 v6, v56, v25
	v_cndmask_b32_e64 v7, -v19, v19, s[4:5]
	s_waitcnt lgkmcnt(1)
	v_add_f32_e32 v58, v7, v8
	;; [unrolled: 4-line block ×5, first 2 shown]
	ds_bpermute_b32 v8, v56, v28
	ds_bpermute_b32 v9, v56, v43
	ds_bpermute_b32 v10, v56, v29
	v_cndmask_b32_e64 v6, -v26, v26, s[4:5]
	ds_bpermute_b32 v11, v56, v38
	s_waitcnt lgkmcnt(4)
	v_add_f32_e32 v6, v6, v7
	v_cndmask_b32_e64 v7, -v28, v28, s[4:5]
	ds_bpermute_b32 v12, v56, v31
	s_waitcnt lgkmcnt(4)
	v_add_f32_e32 v7, v7, v8
	;; [unrolled: 4-line block ×3, first 2 shown]
	v_cndmask_b32_e64 v9, -v29, v29, s[4:5]
	ds_bpermute_b32 v14, v56, v30
	ds_bpermute_b32 v15, v56, v4
	s_waitcnt lgkmcnt(5)
	v_add_f32_e32 v9, v9, v10
	v_cndmask_b32_e64 v10, -v38, v38, s[4:5]
	ds_bpermute_b32 v16, v56, v3
	s_waitcnt lgkmcnt(5)
	v_add_f32_e32 v10, v10, v11
	v_cndmask_b32_e64 v11, -v31, v31, s[4:5]
	s_waitcnt lgkmcnt(4)
	v_add_f32_e32 v11, v11, v12
	v_cndmask_b32_e64 v12, -v39, v39, s[4:5]
	;; [unrolled: 3-line block ×3, first 2 shown]
	v_cndmask_b32_e64 v4, -v4, v4, s[4:5]
	s_waitcnt lgkmcnt(2)
	v_add_f32_e32 v13, v13, v14
	s_waitcnt lgkmcnt(1)
	v_add_f32_e32 v14, v4, v15
	ds_bpermute_b32 v4, v56, v44
	v_cndmask_b32_e64 v3, -v3, v3, s[4:5]
	s_waitcnt lgkmcnt(1)
	v_add_f32_e32 v15, v3, v16
	ds_bpermute_b32 v3, v56, v36
	v_cndmask_b32_e64 v16, -v44, v44, s[4:5]
	;; [unrolled: 4-line block ×14, first 2 shown]
	s_waitcnt lgkmcnt(1)
	v_add_f32_e32 v26, v5, v4
	v_cndmask_b32_e64 v4, -v52, v52, s[4:5]
	ds_bpermute_b32 v5, v56, v53
	s_waitcnt lgkmcnt(1)
	v_add_f32_e32 v27, v4, v3
	ds_bpermute_b32 v3, v56, v54
	ds_bpermute_b32 v24, v56, v55
	v_cndmask_b32_e64 v4, -v53, v53, s[4:5]
	s_waitcnt lgkmcnt(2)
	v_add_f32_e32 v25, v4, v5
	v_cndmask_b32_e64 v4, -v54, v54, s[4:5]
	s_waitcnt lgkmcnt(1)
	v_add_f32_e32 v23, v4, v3
	v_cndmask_b32_e64 v3, -v55, v55, s[4:5]
	s_waitcnt lgkmcnt(0)
	v_add_f32_e32 v24, v3, v24
	v_xor_b32_e32 v3, 32, v1
	v_cmp_lt_i32_e64 s[4:5], v3, v2
	v_cndmask_b32_e64 v1, v1, v3, s[4:5]
	v_lshlrev_b32_e32 v30, 2, v1
	ds_bpermute_b32 v1, v30, v57
	ds_bpermute_b32 v3, v30, v58
	v_and_b32_e32 v2, 32, v0
	ds_bpermute_b32 v4, v30, v59
	v_cmp_eq_u32_e64 s[10:11], 0, v2
	ds_bpermute_b32 v5, v30, v60
	v_cndmask_b32_e64 v2, -v57, v57, s[10:11]
	ds_bpermute_b32 v40, v30, v61
	ds_bpermute_b32 v41, v30, v6
	s_waitcnt lgkmcnt(5)
	v_add_f32_e32 v1, v2, v1
	v_cndmask_b32_e64 v2, -v58, v58, s[10:11]
	s_waitcnt lgkmcnt(4)
	v_add_f32_e32 v2, v2, v3
	v_cndmask_b32_e64 v3, -v59, v59, s[10:11]
	;; [unrolled: 3-line block ×4, first 2 shown]
	v_cndmask_b32_e64 v6, -v6, v6, s[10:11]
	s_waitcnt lgkmcnt(1)
	v_add_f32_e32 v5, v5, v40
	ds_bpermute_b32 v40, v30, v7
	s_waitcnt lgkmcnt(1)
	v_add_f32_e32 v6, v6, v41
	ds_bpermute_b32 v41, v30, v8
	v_cndmask_b32_e64 v7, -v7, v7, s[10:11]
	v_cndmask_b32_e64 v8, -v8, v8, s[10:11]
	s_waitcnt lgkmcnt(1)
	v_add_f32_e32 v7, v7, v40
	ds_bpermute_b32 v40, v30, v9
	s_waitcnt lgkmcnt(1)
	v_add_f32_e32 v8, v8, v41
	ds_bpermute_b32 v41, v30, v10
	v_cndmask_b32_e64 v9, -v9, v9, s[10:11]
	;; [unrolled: 8-line block ×7, first 2 shown]
	v_cndmask_b32_e64 v20, -v20, v20, s[10:11]
	s_waitcnt lgkmcnt(1)
	v_add_f32_e32 v19, v19, v40
	ds_bpermute_b32 v40, v30, v39
	s_waitcnt lgkmcnt(1)
	v_add_f32_e32 v20, v20, v41
	ds_bpermute_b32 v41, v30, v38
	ds_bpermute_b32 v42, v30, v37
	v_cndmask_b32_e64 v39, -v39, v39, s[10:11]
	v_cndmask_b32_e64 v38, -v38, v38, s[10:11]
	s_waitcnt lgkmcnt(2)
	v_add_f32_e32 v39, v39, v40
	s_waitcnt lgkmcnt(1)
	v_add_f32_e32 v40, v38, v41
	ds_bpermute_b32 v38, v30, v36
	v_cndmask_b32_e64 v37, -v37, v37, s[10:11]
	s_waitcnt lgkmcnt(1)
	v_add_f32_e32 v41, v37, v42
	ds_bpermute_b32 v37, v30, v31
	v_cndmask_b32_e64 v36, -v36, v36, s[10:11]
	s_waitcnt lgkmcnt(1)
	v_add_f32_e32 v42, v36, v38
	ds_bpermute_b32 v36, v30, v29
	v_cndmask_b32_e64 v31, -v31, v31, s[10:11]
	s_waitcnt lgkmcnt(1)
	v_add_f32_e32 v43, v31, v37
	ds_bpermute_b32 v31, v30, v28
	v_cndmask_b32_e64 v29, -v29, v29, s[10:11]
	s_waitcnt lgkmcnt(1)
	v_add_f32_e32 v44, v29, v36
	ds_bpermute_b32 v29, v30, v26
	v_cndmask_b32_e64 v28, -v28, v28, s[10:11]
	s_waitcnt lgkmcnt(1)
	v_add_f32_e32 v45, v28, v31
	ds_bpermute_b32 v28, v30, v27
	v_cndmask_b32_e64 v26, -v26, v26, s[10:11]
	s_waitcnt lgkmcnt(1)
	v_add_f32_e32 v46, v26, v29
	v_cndmask_b32_e64 v26, -v27, v27, s[10:11]
	ds_bpermute_b32 v27, v30, v25
	s_waitcnt lgkmcnt(1)
	v_add_f32_e32 v47, v26, v28
	ds_bpermute_b32 v26, v30, v23
	ds_bpermute_b32 v28, v30, v24
	v_cndmask_b32_e64 v23, -v23, v23, s[10:11]
	v_cndmask_b32_e64 v25, -v25, v25, s[10:11]
	s_waitcnt lgkmcnt(2)
	v_add_f32_e32 v48, v25, v27
	s_waitcnt lgkmcnt(1)
	v_add_f32_e32 v49, v23, v26
	v_cndmask_b32_e64 v23, -v24, v24, s[10:11]
	s_waitcnt lgkmcnt(0)
	v_add_f32_e32 v50, v23, v28
	v_lshrrev_b32_e32 v23, 6, v0
	v_and_b32_e32 v24, 3, v0
	v_lshrrev_b32_e32 v25, 2, v0
	v_xor_b32_e32 v0, v23, v0
	v_lshl_add_u32 v28, v0, 4, 0
	v_lshl_or_b32 v0, v24, 6, v25
	v_xor_b32_e32 v0, v0, v24
	v_lshl_add_u32 v0, v0, 4, 0
	s_barrier
	ds_write_b128 v28, v[1:4]
	ds_write_b128 v28, v[5:8] offset:4096
	ds_write_b128 v28, v[9:12] offset:8192
	;; [unrolled: 1-line block ×7, first 2 shown]
	s_waitcnt lgkmcnt(0)
	s_barrier
	ds_read_b128 v[1:4], v0
	ds_read_b128 v[5:8], v0 offset:4096
	ds_read_b128 v[9:12], v0 offset:8192
	;; [unrolled: 1-line block ×5, first 2 shown]
	s_waitcnt lgkmcnt(5)
	ds_bpermute_b32 v27, v21, v1
	ds_bpermute_b32 v29, v21, v2
	v_cndmask_b32_e64 v1, -v1, v1, s[14:15]
	v_cndmask_b32_e64 v2, -v2, v2, s[14:15]
	ds_read_b128 v[36:39], v0 offset:24576
	ds_read_b128 v[40:43], v0 offset:28672
	s_waitcnt lgkmcnt(3)
	v_add_f32_e32 v1, v1, v27
	ds_bpermute_b32 v27, v21, v3
	s_waitcnt lgkmcnt(3)
	v_add_f32_e32 v2, v2, v29
	ds_bpermute_b32 v29, v21, v4
	v_cndmask_b32_e64 v3, -v3, v3, s[14:15]
	v_cndmask_b32_e64 v4, -v4, v4, s[14:15]
	s_waitcnt lgkmcnt(1)
	v_add_f32_e32 v3, v3, v27
	ds_bpermute_b32 v27, v21, v5
	s_waitcnt lgkmcnt(1)
	v_add_f32_e32 v4, v4, v29
	ds_bpermute_b32 v29, v21, v6
	v_cndmask_b32_e64 v5, -v5, v5, s[14:15]
	v_cndmask_b32_e64 v6, -v6, v6, s[14:15]
	;; [unrolled: 8-line block ×13, first 2 shown]
	s_waitcnt lgkmcnt(1)
	v_add_f32_e32 v30, v36, v30
	ds_bpermute_b32 v36, v21, v40
	s_waitcnt lgkmcnt(1)
	v_add_f32_e32 v31, v37, v31
	ds_bpermute_b32 v37, v21, v41
	v_cndmask_b32_e64 v38, -v40, v40, s[14:15]
	s_waitcnt lgkmcnt(0)
	v_add_f32_e32 v40, v38, v36
	ds_bpermute_b32 v36, v21, v42
	v_cndmask_b32_e64 v38, -v41, v41, s[14:15]
	v_add_f32_e32 v41, v38, v37
	ds_bpermute_b32 v21, v21, v43
	v_cndmask_b32_e64 v37, -v42, v42, s[14:15]
	s_waitcnt lgkmcnt(1)
	v_add_f32_e32 v42, v37, v36
	ds_bpermute_b32 v36, v22, v1
	v_cndmask_b32_e64 v37, -v43, v43, s[14:15]
	s_waitcnt lgkmcnt(1)
	;; [unrolled: 4-line block ×30, first 2 shown]
	v_add_f32_e32 v39, v30, v29
	v_cndmask_b32_e64 v29, -v40, v40, s[8:9]
	ds_bpermute_b32 v30, v22, v41
	s_waitcnt lgkmcnt(1)
	v_add_f32_e32 v40, v29, v27
	ds_bpermute_b32 v27, v22, v42
	ds_bpermute_b32 v22, v22, v21
	v_cndmask_b32_e64 v29, -v41, v41, s[8:9]
	s_waitcnt lgkmcnt(2)
	v_add_f32_e32 v41, v29, v30
	v_cndmask_b32_e64 v29, -v42, v42, s[8:9]
	v_cndmask_b32_e64 v21, -v21, v21, s[8:9]
	s_waitcnt lgkmcnt(1)
	v_add_f32_e32 v42, v29, v27
	s_waitcnt lgkmcnt(0)
	v_add_f32_e32 v43, v21, v22
	s_barrier
	ds_write_b128 v0, v[1:4]
	ds_write_b128 v0, v[5:8] offset:4096
	ds_write_b128 v0, v[9:12] offset:8192
	;; [unrolled: 1-line block ×7, first 2 shown]
	s_waitcnt lgkmcnt(0)
	s_barrier
	s_mul_i32 s4, s22, s7
	s_mul_hi_u32 s5, s22, s6
	ds_read_b128 v[0:3], v28
	ds_read_b128 v[8:11], v28 offset:8192
	ds_read_b128 v[4:7], v28 offset:16384
	;; [unrolled: 1-line block ×7, first 2 shown]
	s_add_i32 s4, s5, s4
	s_mul_i32 s5, s23, s6
	s_add_i32 s5, s4, s5
	s_mul_i32 s4, s22, s6
	s_lshl_b64 s[4:5], s[4:5], 1
	s_add_u32 s6, s18, s4
	s_addc_u32 s7, s19, s5
	s_waitcnt lgkmcnt(6)
	v_add_f32_e32 v48, v0, v8
	v_add_f32_e32 v49, v1, v9
	s_waitcnt lgkmcnt(4)
	v_add_f32_e32 v50, v4, v12
	v_add_f32_e32 v51, v5, v13
	;; [unrolled: 1-line block ×6, first 2 shown]
	s_waitcnt lgkmcnt(2)
	v_add_f32_e32 v44, v16, v20
	v_add_f32_e32 v45, v17, v21
	s_waitcnt lgkmcnt(0)
	v_add_f32_e32 v46, v24, v28
	v_add_f32_e32 v47, v25, v29
	;; [unrolled: 1-line block ×6, first 2 shown]
	s_and_saveexec_b64 s[8:9], s[12:13]
	s_cbranch_execz .LBB36_10
; %bb.9:
	v_add_f32_e32 v52, v37, v39
	v_mul_f32_e32 v52, s16, v52
	v_add_f32_e32 v53, v36, v38
	v_bfe_u32 v60, v52, 16, 1
	s_movk_i32 s10, 0x7fff
	v_add3_u32 v60, v60, v52, s10
	v_or_b32_e32 v61, 0x400000, v52
	v_cmp_u_f32_e64 s[4:5], v52, v52
	v_mul_f32_e32 v53, s16, v53
	v_add_f32_e32 v54, v45, v47
	v_cndmask_b32_e64 v52, v60, v61, s[4:5]
	v_bfe_u32 v60, v53, 16, 1
	v_add3_u32 v60, v60, v53, s10
	v_or_b32_e32 v61, 0x400000, v53
	v_cmp_u_f32_e64 s[4:5], v53, v53
	v_mul_f32_e32 v54, s16, v54
	v_add_f32_e32 v55, v44, v46
	v_cndmask_b32_e64 v53, v60, v61, s[4:5]
	v_bfe_u32 v60, v54, 16, 1
	;; [unrolled: 7-line block ×3, first 2 shown]
	v_add3_u32 v60, v60, v55, s10
	v_or_b32_e32 v61, 0x400000, v55
	v_cmp_u_f32_e64 s[4:5], v55, v55
	v_mul_f32_e32 v55, s16, v56
	v_add_f32_e32 v57, v40, v42
	v_bfe_u32 v56, v55, 16, 1
	v_cndmask_b32_e64 v60, v60, v61, s[4:5]
	v_add3_u32 v56, v56, v55, s10
	v_or_b32_e32 v61, 0x400000, v55
	v_cmp_u_f32_e64 s[4:5], v55, v55
	v_mul_f32_e32 v55, s16, v57
	v_add_f32_e32 v58, v49, v51
	v_bfe_u32 v57, v55, 16, 1
	v_cndmask_b32_e64 v56, v56, v61, s[4:5]
	;; [unrolled: 7-line block ×3, first 2 shown]
	v_add3_u32 v58, v58, v55, s10
	v_or_b32_e32 v61, 0x400000, v55
	v_cmp_u_f32_e64 s[4:5], v55, v55
	v_mul_f32_e32 v55, s16, v59
	v_bfe_u32 v59, v55, 16, 1
	v_cndmask_b32_e64 v58, v58, v61, s[4:5]
	v_add3_u32 v59, v59, v55, s10
	v_or_b32_e32 v61, 0x400000, v55
	v_cmp_u_f32_e64 s[4:5], v55, v55
	v_cndmask_b32_e64 v59, v59, v61, s[4:5]
	s_mov_b32 s4, 0x7060302
	v_perm_b32 v55, v52, v53, s4
	v_perm_b32 v54, v54, v60, s4
	;; [unrolled: 1-line block ×4, first 2 shown]
	global_store_dwordx4 v35, v[52:55], s[6:7]
.LBB36_10:
	s_or_b64 exec, exec, s[8:9]
	v_sub_f32_e32 v35, v1, v9
	v_sub_f32_e32 v52, v0, v8
	;; [unrolled: 1-line block ×16, first 2 shown]
	s_and_saveexec_b64 s[4:5], s[2:3]
	s_cbranch_execnz .LBB36_14
; %bb.11:
	s_or_b64 exec, exec, s[4:5]
	s_and_saveexec_b64 s[2:3], s[0:1]
	s_cbranch_execnz .LBB36_15
.LBB36_12:
	s_or_b64 exec, exec, s[2:3]
	s_and_saveexec_b64 s[0:1], vcc
	s_cbranch_execnz .LBB36_16
.LBB36_13:
	s_endpgm
.LBB36_14:
	v_add_f32_e32 v14, v52, v12
	v_mul_f32_e32 v14, s16, v14
	v_add_f32_e32 v15, v35, v13
	v_bfe_u32 v16, v14, 16, 1
	s_movk_i32 s8, 0x7fff
	v_add3_u32 v16, v16, v14, s8
	v_or_b32_e32 v17, 0x400000, v14
	v_cmp_u_f32_e64 s[2:3], v14, v14
	v_mul_f32_e32 v15, s16, v15
	v_cndmask_b32_e64 v14, v16, v17, s[2:3]
	v_bfe_u32 v16, v15, 16, 1
	v_add3_u32 v16, v16, v15, s8
	v_or_b32_e32 v17, 0x400000, v15
	v_cmp_u_f32_e64 s[2:3], v15, v15
	v_add_f32_e32 v15, v9, v11
	v_mul_f32_e32 v15, s16, v15
	v_cndmask_b32_e64 v18, v16, v17, s[2:3]
	v_add_f32_e32 v16, v8, v10
	v_bfe_u32 v17, v15, 16, 1
	v_add3_u32 v17, v17, v15, s8
	v_or_b32_e32 v19, 0x400000, v15
	v_cmp_u_f32_e64 s[2:3], v15, v15
	v_mul_f32_e32 v16, s16, v16
	v_cndmask_b32_e64 v15, v17, v19, s[2:3]
	v_bfe_u32 v17, v16, 16, 1
	v_add3_u32 v17, v17, v16, s8
	v_or_b32_e32 v19, 0x400000, v16
	v_cmp_u_f32_e64 s[2:3], v16, v16
	v_add_f32_e32 v16, v5, v7
	v_mul_f32_e32 v16, s16, v16
	v_cndmask_b32_e64 v19, v17, v19, s[2:3]
	v_add_f32_e32 v17, v4, v6
	v_bfe_u32 v20, v16, 16, 1
	;; [unrolled: 14-line block ×3, first 2 shown]
	v_add3_u32 v22, v22, v17, s8
	v_or_b32_e32 v23, 0x400000, v17
	v_cmp_u_f32_e64 s[2:3], v17, v17
	v_mul_f32_e32 v21, s16, v21
	v_cndmask_b32_e64 v17, v22, v23, s[2:3]
	v_bfe_u32 v22, v21, 16, 1
	v_add3_u32 v22, v22, v21, s8
	v_or_b32_e32 v23, 0x400000, v21
	v_cmp_u_f32_e64 s[2:3], v21, v21
	v_cndmask_b32_e64 v21, v22, v23, s[2:3]
	s_mov_b32 s2, 0x7060302
	v_perm_b32 v17, v21, v17, s2
	v_perm_b32 v16, v20, v16, s2
	;; [unrolled: 1-line block ×4, first 2 shown]
	global_store_dwordx4 v34, v[14:17], s[6:7]
	s_or_b64 exec, exec, s[4:5]
	s_and_saveexec_b64 s[2:3], s[0:1]
	s_cbranch_execz .LBB36_12
.LBB36_15:
	v_sub_f32_e32 v14, v48, v50
	v_mul_f32_e32 v14, s16, v14
	v_sub_f32_e32 v15, v49, v51
	v_bfe_u32 v16, v14, 16, 1
	s_movk_i32 s4, 0x7fff
	v_add3_u32 v16, v16, v14, s4
	v_or_b32_e32 v17, 0x400000, v14
	v_cmp_u_f32_e64 s[0:1], v14, v14
	v_mul_f32_e32 v15, s16, v15
	v_cndmask_b32_e64 v14, v16, v17, s[0:1]
	v_bfe_u32 v16, v15, 16, 1
	v_add3_u32 v16, v16, v15, s4
	v_or_b32_e32 v17, 0x400000, v15
	v_cmp_u_f32_e64 s[0:1], v15, v15
	v_sub_f32_e32 v15, v40, v42
	v_mul_f32_e32 v15, s16, v15
	v_cndmask_b32_e64 v18, v16, v17, s[0:1]
	v_sub_f32_e32 v16, v41, v43
	v_bfe_u32 v17, v15, 16, 1
	v_add3_u32 v17, v17, v15, s4
	v_or_b32_e32 v19, 0x400000, v15
	v_cmp_u_f32_e64 s[0:1], v15, v15
	v_mul_f32_e32 v16, s16, v16
	v_cndmask_b32_e64 v15, v17, v19, s[0:1]
	v_bfe_u32 v17, v16, 16, 1
	v_add3_u32 v17, v17, v16, s4
	v_or_b32_e32 v19, 0x400000, v16
	v_cmp_u_f32_e64 s[0:1], v16, v16
	v_sub_f32_e32 v16, v44, v46
	v_mul_f32_e32 v16, s16, v16
	v_cndmask_b32_e64 v19, v17, v19, s[0:1]
	v_sub_f32_e32 v17, v45, v47
	v_bfe_u32 v20, v16, 16, 1
	;; [unrolled: 14-line block ×3, first 2 shown]
	v_add3_u32 v22, v22, v17, s4
	v_or_b32_e32 v23, 0x400000, v17
	v_cmp_u_f32_e64 s[0:1], v17, v17
	v_mul_f32_e32 v21, s16, v21
	v_cndmask_b32_e64 v17, v22, v23, s[0:1]
	v_bfe_u32 v22, v21, 16, 1
	v_add3_u32 v22, v22, v21, s4
	v_or_b32_e32 v23, 0x400000, v21
	v_cmp_u_f32_e64 s[0:1], v21, v21
	v_cndmask_b32_e64 v21, v22, v23, s[0:1]
	s_mov_b32 s0, 0x7060302
	v_perm_b32 v17, v21, v17, s0
	v_perm_b32 v16, v20, v16, s0
	;; [unrolled: 1-line block ×4, first 2 shown]
	global_store_dwordx4 v33, v[14:17], s[6:7]
	s_or_b64 exec, exec, s[2:3]
	s_and_saveexec_b64 s[0:1], vcc
	s_cbranch_execz .LBB36_13
.LBB36_16:
	v_sub_f32_e32 v12, v52, v12
	v_mul_f32_e32 v12, s16, v12
	v_sub_f32_e32 v13, v35, v13
	v_bfe_u32 v14, v12, 16, 1
	s_movk_i32 s0, 0x7fff
	v_mul_f32_e32 v13, s16, v13
	v_add3_u32 v14, v14, v12, s0
	v_or_b32_e32 v15, 0x400000, v12
	v_cmp_u_f32_e32 vcc, v12, v12
	v_sub_f32_e32 v9, v9, v11
	v_cndmask_b32_e32 v12, v14, v15, vcc
	v_bfe_u32 v14, v13, 16, 1
	v_mul_f32_e32 v9, s16, v9
	v_add3_u32 v14, v14, v13, s0
	v_or_b32_e32 v15, 0x400000, v13
	v_cmp_u_f32_e32 vcc, v13, v13
	v_sub_f32_e32 v8, v8, v10
	v_bfe_u32 v10, v9, 16, 1
	v_cndmask_b32_e32 v13, v14, v15, vcc
	v_mul_f32_e32 v8, s16, v8
	v_add3_u32 v10, v10, v9, s0
	v_or_b32_e32 v11, 0x400000, v9
	v_cmp_u_f32_e32 vcc, v9, v9
	v_sub_f32_e32 v5, v5, v7
	v_cndmask_b32_e32 v9, v10, v11, vcc
	v_bfe_u32 v10, v8, 16, 1
	v_mul_f32_e32 v5, s16, v5
	v_add3_u32 v10, v10, v8, s0
	v_or_b32_e32 v11, 0x400000, v8
	v_cmp_u_f32_e32 vcc, v8, v8
	v_sub_f32_e32 v4, v4, v6
	v_bfe_u32 v6, v5, 16, 1
	v_cndmask_b32_e32 v8, v10, v11, vcc
	;; [unrolled: 14-line block ×3, first 2 shown]
	v_mul_f32_e32 v0, s16, v0
	v_add3_u32 v2, v2, v1, s0
	v_or_b32_e32 v3, 0x400000, v1
	v_cmp_u_f32_e32 vcc, v1, v1
	v_cndmask_b32_e32 v1, v2, v3, vcc
	v_bfe_u32 v2, v0, 16, 1
	v_add3_u32 v2, v2, v0, s0
	v_or_b32_e32 v3, 0x400000, v0
	v_cmp_u_f32_e32 vcc, v0, v0
	v_cndmask_b32_e32 v0, v2, v3, vcc
	s_mov_b32 s0, 0x7060302
	v_perm_b32 v3, v0, v1, s0
	v_perm_b32 v2, v4, v5, s0
	;; [unrolled: 1-line block ×4, first 2 shown]
	global_store_dwordx4 v32, v[0:3], s[6:7]
	s_endpgm
	.section	.rodata,"a",@progbits
	.p2align	6, 0x0
	.amdhsa_kernel _Z30fast_hadamard_transform_kernelI37fast_hadamard_transform_kernel_traitsILi256ELi13E14__hip_bfloat16EEv18HadamardParamsBase
		.amdhsa_group_segment_fixed_size 0
		.amdhsa_private_segment_fixed_size 0
		.amdhsa_kernarg_size 312
		.amdhsa_user_sgpr_count 6
		.amdhsa_user_sgpr_private_segment_buffer 1
		.amdhsa_user_sgpr_dispatch_ptr 0
		.amdhsa_user_sgpr_queue_ptr 0
		.amdhsa_user_sgpr_kernarg_segment_ptr 1
		.amdhsa_user_sgpr_dispatch_id 0
		.amdhsa_user_sgpr_flat_scratch_init 0
		.amdhsa_user_sgpr_private_segment_size 0
		.amdhsa_uses_dynamic_stack 0
		.amdhsa_system_sgpr_private_segment_wavefront_offset 0
		.amdhsa_system_sgpr_workgroup_id_x 1
		.amdhsa_system_sgpr_workgroup_id_y 0
		.amdhsa_system_sgpr_workgroup_id_z 0
		.amdhsa_system_sgpr_workgroup_info 0
		.amdhsa_system_vgpr_workitem_id 0
		.amdhsa_next_free_vgpr 62
		.amdhsa_next_free_sgpr 24
		.amdhsa_reserve_vcc 1
		.amdhsa_reserve_flat_scratch 0
		.amdhsa_float_round_mode_32 0
		.amdhsa_float_round_mode_16_64 0
		.amdhsa_float_denorm_mode_32 3
		.amdhsa_float_denorm_mode_16_64 3
		.amdhsa_dx10_clamp 1
		.amdhsa_ieee_mode 1
		.amdhsa_fp16_overflow 0
		.amdhsa_exception_fp_ieee_invalid_op 0
		.amdhsa_exception_fp_denorm_src 0
		.amdhsa_exception_fp_ieee_div_zero 0
		.amdhsa_exception_fp_ieee_overflow 0
		.amdhsa_exception_fp_ieee_underflow 0
		.amdhsa_exception_fp_ieee_inexact 0
		.amdhsa_exception_int_div_zero 0
	.end_amdhsa_kernel
	.section	.text._Z30fast_hadamard_transform_kernelI37fast_hadamard_transform_kernel_traitsILi256ELi13E14__hip_bfloat16EEv18HadamardParamsBase,"axG",@progbits,_Z30fast_hadamard_transform_kernelI37fast_hadamard_transform_kernel_traitsILi256ELi13E14__hip_bfloat16EEv18HadamardParamsBase,comdat
.Lfunc_end36:
	.size	_Z30fast_hadamard_transform_kernelI37fast_hadamard_transform_kernel_traitsILi256ELi13E14__hip_bfloat16EEv18HadamardParamsBase, .Lfunc_end36-_Z30fast_hadamard_transform_kernelI37fast_hadamard_transform_kernel_traitsILi256ELi13E14__hip_bfloat16EEv18HadamardParamsBase
                                        ; -- End function
	.set _Z30fast_hadamard_transform_kernelI37fast_hadamard_transform_kernel_traitsILi256ELi13E14__hip_bfloat16EEv18HadamardParamsBase.num_vgpr, 62
	.set _Z30fast_hadamard_transform_kernelI37fast_hadamard_transform_kernel_traitsILi256ELi13E14__hip_bfloat16EEv18HadamardParamsBase.num_agpr, 0
	.set _Z30fast_hadamard_transform_kernelI37fast_hadamard_transform_kernel_traitsILi256ELi13E14__hip_bfloat16EEv18HadamardParamsBase.numbered_sgpr, 24
	.set _Z30fast_hadamard_transform_kernelI37fast_hadamard_transform_kernel_traitsILi256ELi13E14__hip_bfloat16EEv18HadamardParamsBase.num_named_barrier, 0
	.set _Z30fast_hadamard_transform_kernelI37fast_hadamard_transform_kernel_traitsILi256ELi13E14__hip_bfloat16EEv18HadamardParamsBase.private_seg_size, 0
	.set _Z30fast_hadamard_transform_kernelI37fast_hadamard_transform_kernel_traitsILi256ELi13E14__hip_bfloat16EEv18HadamardParamsBase.uses_vcc, 1
	.set _Z30fast_hadamard_transform_kernelI37fast_hadamard_transform_kernel_traitsILi256ELi13E14__hip_bfloat16EEv18HadamardParamsBase.uses_flat_scratch, 0
	.set _Z30fast_hadamard_transform_kernelI37fast_hadamard_transform_kernel_traitsILi256ELi13E14__hip_bfloat16EEv18HadamardParamsBase.has_dyn_sized_stack, 0
	.set _Z30fast_hadamard_transform_kernelI37fast_hadamard_transform_kernel_traitsILi256ELi13E14__hip_bfloat16EEv18HadamardParamsBase.has_recursion, 0
	.set _Z30fast_hadamard_transform_kernelI37fast_hadamard_transform_kernel_traitsILi256ELi13E14__hip_bfloat16EEv18HadamardParamsBase.has_indirect_call, 0
	.section	.AMDGPU.csdata,"",@progbits
; Kernel info:
; codeLenInByte = 9584
; TotalNumSgprs: 28
; NumVgprs: 62
; ScratchSize: 0
; MemoryBound: 0
; FloatMode: 240
; IeeeMode: 1
; LDSByteSize: 0 bytes/workgroup (compile time only)
; SGPRBlocks: 3
; VGPRBlocks: 15
; NumSGPRsForWavesPerEU: 28
; NumVGPRsForWavesPerEU: 62
; Occupancy: 4
; WaveLimiterHint : 0
; COMPUTE_PGM_RSRC2:SCRATCH_EN: 0
; COMPUTE_PGM_RSRC2:USER_SGPR: 6
; COMPUTE_PGM_RSRC2:TRAP_HANDLER: 0
; COMPUTE_PGM_RSRC2:TGID_X_EN: 1
; COMPUTE_PGM_RSRC2:TGID_Y_EN: 0
; COMPUTE_PGM_RSRC2:TGID_Z_EN: 0
; COMPUTE_PGM_RSRC2:TIDIG_COMP_CNT: 0
	.section	.text._Z30fast_hadamard_transform_kernelI37fast_hadamard_transform_kernel_traitsILi256ELi14E14__hip_bfloat16EEv18HadamardParamsBase,"axG",@progbits,_Z30fast_hadamard_transform_kernelI37fast_hadamard_transform_kernel_traitsILi256ELi14E14__hip_bfloat16EEv18HadamardParamsBase,comdat
	.protected	_Z30fast_hadamard_transform_kernelI37fast_hadamard_transform_kernel_traitsILi256ELi14E14__hip_bfloat16EEv18HadamardParamsBase ; -- Begin function _Z30fast_hadamard_transform_kernelI37fast_hadamard_transform_kernel_traitsILi256ELi14E14__hip_bfloat16EEv18HadamardParamsBase
	.globl	_Z30fast_hadamard_transform_kernelI37fast_hadamard_transform_kernel_traitsILi256ELi14E14__hip_bfloat16EEv18HadamardParamsBase
	.p2align	8
	.type	_Z30fast_hadamard_transform_kernelI37fast_hadamard_transform_kernel_traitsILi256ELi14E14__hip_bfloat16EEv18HadamardParamsBase,@function
_Z30fast_hadamard_transform_kernelI37fast_hadamard_transform_kernel_traitsILi256ELi14E14__hip_bfloat16EEv18HadamardParamsBase: ; @_Z30fast_hadamard_transform_kernelI37fast_hadamard_transform_kernel_traitsILi256ELi14E14__hip_bfloat16EEv18HadamardParamsBase
; %bb.0:
	s_load_dwordx4 s[24:27], s[4:5], 0x10
	s_load_dword s28, s[4:5], 0x4
	s_load_dwordx4 s[20:23], s[4:5], 0x28
	s_ashr_i32 s7, s6, 31
	s_load_dword s2, s[4:5], 0x44
	s_waitcnt lgkmcnt(0)
	s_mul_hi_u32 s0, s24, s6
	s_mul_i32 s1, s24, s7
	s_add_i32 s0, s0, s1
	s_mul_i32 s1, s25, s6
	s_add_i32 s1, s0, s1
	s_mul_i32 s0, s24, s6
	s_lshl_b64 s[0:1], s[0:1], 1
	s_add_u32 s14, s20, s0
	v_lshlrev_b32_e32 v1, 3, v0
	s_addc_u32 s15, s21, s1
	v_cmp_gt_u32_e64 s[12:13], s28, v1
	v_mov_b32_e32 v1, 0
	v_lshlrev_b32_e32 v71, 4, v0
	v_mov_b32_e32 v2, 0
	v_mov_b32_e32 v3, 0
	;; [unrolled: 1-line block ×8, first 2 shown]
	s_and_saveexec_b64 s[0:1], s[12:13]
	s_cbranch_execz .LBB37_2
; %bb.1:
	global_load_dwordx4 v[11:14], v71, s[14:15]
	s_waitcnt vmcnt(0)
	v_lshlrev_b32_e32 v10, 16, v11
	v_and_b32_e32 v9, 0xffff0000, v11
	v_lshlrev_b32_e32 v7, 16, v12
	v_and_b32_e32 v6, 0xffff0000, v12
	;; [unrolled: 2-line block ×4, first 2 shown]
.LBB37_2:
	s_or_b64 exec, exec, s[0:1]
	s_and_b32 s24, 0xffff, s2
	v_add_u32_e32 v15, s24, v0
	v_lshlrev_b32_e32 v8, 3, v15
	v_cmp_gt_u32_e64 s[10:11], s28, v8
	v_lshlrev_b32_e32 v70, 4, v15
	v_mov_b32_e32 v8, 0
	v_mov_b32_e32 v11, 0
	v_mov_b32_e32 v12, 0
	v_mov_b32_e32 v13, 0
	v_mov_b32_e32 v14, 0
	v_mov_b32_e32 v18, 0
	v_mov_b32_e32 v19, 0
	s_and_saveexec_b64 s[0:1], s[10:11]
	s_cbranch_execz .LBB37_4
; %bb.3:
	global_load_dwordx4 v[20:23], v70, s[14:15]
	s_waitcnt vmcnt(0)
	v_lshlrev_b32_e32 v19, 16, v20
	v_and_b32_e32 v18, 0xffff0000, v20
	v_lshlrev_b32_e32 v14, 16, v21
	v_and_b32_e32 v13, 0xffff0000, v21
	v_lshlrev_b32_e32 v12, 16, v22
	v_and_b32_e32 v11, 0xffff0000, v22
	v_lshlrev_b32_e32 v8, 16, v23
	v_and_b32_e32 v1, 0xffff0000, v23
.LBB37_4:
	s_or_b64 exec, exec, s[0:1]
	v_add_u32_e32 v24, s24, v15
	v_lshlrev_b32_e32 v15, 3, v24
	v_cmp_gt_u32_e64 s[8:9], s28, v15
	v_mov_b32_e32 v15, 0
	v_lshlrev_b32_e32 v69, 4, v24
	v_mov_b32_e32 v16, 0
	v_mov_b32_e32 v17, 0
	v_mov_b32_e32 v20, 0
	v_mov_b32_e32 v21, 0
	v_mov_b32_e32 v22, 0
	v_mov_b32_e32 v23, 0
	v_mov_b32_e32 v25, 0
	v_mov_b32_e32 v26, 0
	s_and_saveexec_b64 s[0:1], s[8:9]
	s_cbranch_execz .LBB37_6
; %bb.5:
	global_load_dwordx4 v[27:30], v69, s[14:15]
	s_waitcnt vmcnt(0)
	v_lshlrev_b32_e32 v26, 16, v27
	v_and_b32_e32 v25, 0xffff0000, v27
	v_lshlrev_b32_e32 v23, 16, v28
	v_and_b32_e32 v22, 0xffff0000, v28
	v_lshlrev_b32_e32 v21, 16, v29
	v_and_b32_e32 v20, 0xffff0000, v29
	v_lshlrev_b32_e32 v17, 16, v30
	v_and_b32_e32 v16, 0xffff0000, v30
.LBB37_6:
	s_or_b64 exec, exec, s[0:1]
	v_add_u32_e32 v31, s24, v24
	v_lshlrev_b32_e32 v24, 3, v31
	v_cmp_gt_u32_e64 s[20:21], s28, v24
	v_lshlrev_b32_e32 v68, 4, v31
	v_mov_b32_e32 v24, 0
	v_mov_b32_e32 v27, 0
	v_mov_b32_e32 v28, 0
	v_mov_b32_e32 v29, 0
	v_mov_b32_e32 v30, 0
	v_mov_b32_e32 v34, 0
	v_mov_b32_e32 v35, 0
	s_and_saveexec_b64 s[0:1], s[20:21]
	s_cbranch_execz .LBB37_8
; %bb.7:
	global_load_dwordx4 v[36:39], v68, s[14:15]
	s_waitcnt vmcnt(0)
	v_lshlrev_b32_e32 v35, 16, v36
	v_and_b32_e32 v34, 0xffff0000, v36
	v_lshlrev_b32_e32 v30, 16, v37
	v_and_b32_e32 v29, 0xffff0000, v37
	v_lshlrev_b32_e32 v28, 16, v38
	v_and_b32_e32 v27, 0xffff0000, v38
	v_lshlrev_b32_e32 v24, 16, v39
	v_and_b32_e32 v15, 0xffff0000, v39
.LBB37_8:
	s_or_b64 exec, exec, s[0:1]
	v_add_u32_e32 v40, s24, v31
	v_lshlrev_b32_e32 v31, 3, v40
	v_cmp_gt_u32_e64 s[18:19], s28, v31
	v_mov_b32_e32 v31, 0
	v_lshlrev_b32_e32 v67, 4, v40
	v_mov_b32_e32 v32, 0
	v_mov_b32_e32 v33, 0
	v_mov_b32_e32 v36, 0
	v_mov_b32_e32 v37, 0
	v_mov_b32_e32 v38, 0
	v_mov_b32_e32 v39, 0
	v_mov_b32_e32 v41, 0
	v_mov_b32_e32 v42, 0
	s_and_saveexec_b64 s[0:1], s[18:19]
	s_cbranch_execz .LBB37_10
; %bb.9:
	global_load_dwordx4 v[43:46], v67, s[14:15]
	s_waitcnt vmcnt(0)
	v_lshlrev_b32_e32 v42, 16, v43
	v_and_b32_e32 v41, 0xffff0000, v43
	v_lshlrev_b32_e32 v39, 16, v44
	v_and_b32_e32 v38, 0xffff0000, v44
	v_lshlrev_b32_e32 v37, 16, v45
	v_and_b32_e32 v36, 0xffff0000, v45
	v_lshlrev_b32_e32 v33, 16, v46
	v_and_b32_e32 v32, 0xffff0000, v46
.LBB37_10:
	s_or_b64 exec, exec, s[0:1]
	;; [unrolled: 54-line block ×3, first 2 shown]
	v_add_u32_e32 v56, s24, v56
	v_lshlrev_b32_e32 v59, 3, v56
	v_cmp_gt_u32_e32 vcc, s28, v59
	v_lshlrev_b32_e32 v64, 4, v56
	v_mov_b32_e32 v56, 0
	v_mov_b32_e32 v59, 0
	;; [unrolled: 1-line block ×7, first 2 shown]
	s_and_saveexec_b64 s[16:17], vcc
	s_cbranch_execz .LBB37_16
; %bb.15:
	global_load_dwordx4 v[73:76], v64, s[14:15]
	s_waitcnt vmcnt(0)
	v_lshlrev_b32_e32 v72, 16, v73
	v_and_b32_e32 v63, 0xffff0000, v73
	v_lshlrev_b32_e32 v62, 16, v74
	v_and_b32_e32 v61, 0xffff0000, v74
	;; [unrolled: 2-line block ×4, first 2 shown]
.LBB37_16:
	s_or_b64 exec, exec, s[16:17]
	v_add_f32_e32 v73, v9, v10
	v_sub_f32_e32 v9, v10, v9
	v_add_f32_e32 v10, v18, v19
	v_sub_f32_e32 v18, v19, v18
	;; [unrolled: 2-line block ×63, first 2 shown]
	v_add_f32_e32 v52, v47, v59
	v_add_f32_e32 v75, v8, v14
	v_sub_f32_e32 v8, v14, v8
	v_add_f32_e32 v14, v17, v23
	v_sub_f32_e32 v17, v23, v17
	;; [unrolled: 2-line block ×8, first 2 shown]
	v_mbcnt_lo_u32_b32 v1, -1, 0
	v_add_f32_e32 v74, v11, v18
	v_sub_f32_e32 v11, v18, v11
	v_add_f32_e32 v18, v20, v25
	v_sub_f32_e32 v20, v25, v20
	;; [unrolled: 2-line block ×8, first 2 shown]
	v_mbcnt_hi_u32_b32 v3, -1, v1
	v_and_b32_e32 v1, 64, v3
	v_sub_f32_e32 v47, v59, v47
	v_add_f32_e32 v59, v56, v63
	v_sub_f32_e32 v56, v56, v63
	v_add_f32_e32 v63, v62, v73
	;; [unrolled: 2-line block ×10, first 2 shown]
	v_sub_f32_e32 v9, v9, v4
	v_add_u32_e32 v4, 64, v1
	v_xor_b32_e32 v1, 1, v3
	s_load_dword s24, s[4:5], 0x20
	v_cmp_lt_i32_e64 s[4:5], v1, v4
	v_cndmask_b32_e64 v1, v3, v1, s[4:5]
	v_lshlrev_b32_e32 v1, 2, v1
	v_add_f32_e32 v76, v16, v22
	v_sub_f32_e32 v16, v22, v16
	v_add_f32_e32 v22, v15, v29
	v_sub_f32_e32 v15, v29, v15
	;; [unrolled: 2-line block ×6, first 2 shown]
	ds_bpermute_b32 v61, v1, v59
	v_and_b32_e32 v77, 1, v0
	v_cmp_eq_u32_e64 s[14:15], 0, v77
	v_cndmask_b32_e64 v59, -v59, v59, s[14:15]
	ds_bpermute_b32 v77, v1, v55
	s_waitcnt lgkmcnt(0)
	v_add_f32_e32 v59, v59, v61
	ds_bpermute_b32 v61, v1, v57
	v_cndmask_b32_e64 v57, -v57, v57, s[14:15]
	v_cndmask_b32_e64 v55, -v55, v55, s[14:15]
	v_add_f32_e32 v55, v55, v77
	ds_bpermute_b32 v77, v1, v53
	s_waitcnt lgkmcnt(1)
	v_add_f32_e32 v57, v57, v61
	ds_bpermute_b32 v61, v1, v56
	v_cndmask_b32_e64 v56, -v56, v56, s[14:15]
	v_cndmask_b32_e64 v53, -v53, v53, s[14:15]
	s_waitcnt lgkmcnt(1)
	v_add_f32_e32 v53, v53, v77
	ds_bpermute_b32 v77, v1, v2
	s_waitcnt lgkmcnt(1)
	v_add_f32_e32 v56, v56, v61
	ds_bpermute_b32 v61, v1, v60
	v_cndmask_b32_e64 v60, -v60, v60, s[14:15]
	v_cndmask_b32_e64 v2, -v2, v2, s[14:15]
	s_waitcnt lgkmcnt(1)
	;; [unrolled: 8-line block ×27, first 2 shown]
	v_add_f32_e32 v50, v50, v2
	ds_bpermute_b32 v2, v1, v54
	s_waitcnt lgkmcnt(1)
	v_add_f32_e32 v42, v42, v75
	ds_bpermute_b32 v75, v1, v46
	v_cndmask_b32_e64 v46, -v46, v46, s[14:15]
	ds_bpermute_b32 v78, v1, v51
	v_cndmask_b32_e64 v54, -v54, v54, s[14:15]
	s_waitcnt lgkmcnt(2)
	v_add_f32_e32 v54, v54, v2
	s_waitcnt lgkmcnt(1)
	v_add_f32_e32 v46, v46, v75
	ds_bpermute_b32 v75, v1, v44
	v_cndmask_b32_e64 v2, -v44, v44, s[14:15]
	v_cndmask_b32_e64 v51, -v51, v51, s[14:15]
	s_waitcnt lgkmcnt(1)
	v_add_f32_e32 v51, v51, v78
	ds_bpermute_b32 v78, v1, v47
	s_waitcnt lgkmcnt(1)
	v_add_f32_e32 v75, v2, v75
	ds_bpermute_b32 v2, v1, v49
	v_cndmask_b32_e64 v49, -v49, v49, s[14:15]
	ds_bpermute_b32 v44, v1, v52
	v_cndmask_b32_e64 v52, -v52, v52, s[14:15]
	s_waitcnt lgkmcnt(0)
	v_add_f32_e32 v49, v49, v2
	v_cndmask_b32_e64 v2, -v47, v47, s[14:15]
	v_add_f32_e32 v47, v2, v78
	v_xor_b32_e32 v2, 2, v3
	v_cmp_lt_i32_e64 s[4:5], v2, v4
	v_cndmask_b32_e64 v2, v3, v2, s[4:5]
	v_lshlrev_b32_e32 v2, 2, v2
	v_add_f32_e32 v44, v52, v44
	ds_bpermute_b32 v52, v2, v59
	v_and_b32_e32 v78, 2, v0
	v_cmp_eq_u32_e64 s[16:17], 0, v78
	v_cndmask_b32_e64 v59, -v59, v59, s[16:17]
	ds_bpermute_b32 v78, v2, v55
	s_waitcnt lgkmcnt(1)
	v_add_f32_e32 v52, v59, v52
	ds_bpermute_b32 v59, v2, v57
	v_cndmask_b32_e64 v57, -v57, v57, s[16:17]
	v_cndmask_b32_e64 v55, -v55, v55, s[16:17]
	s_waitcnt lgkmcnt(1)
	v_add_f32_e32 v55, v55, v78
	ds_bpermute_b32 v78, v2, v53
	s_waitcnt lgkmcnt(1)
	v_add_f32_e32 v57, v57, v59
	ds_bpermute_b32 v59, v2, v56
	v_cndmask_b32_e64 v56, -v56, v56, s[16:17]
	v_cndmask_b32_e64 v53, -v53, v53, s[16:17]
	s_waitcnt lgkmcnt(1)
	v_add_f32_e32 v53, v53, v78
	;; [unrolled: 8-line block ×28, first 2 shown]
	ds_bpermute_b32 v78, v2, v54
	s_waitcnt lgkmcnt(1)
	v_add_f32_e32 v42, v42, v73
	ds_bpermute_b32 v73, v2, v46
	v_cndmask_b32_e64 v46, -v46, v46, s[16:17]
	ds_bpermute_b32 v79, v2, v51
	v_cndmask_b32_e64 v54, -v54, v54, s[16:17]
	s_waitcnt lgkmcnt(2)
	v_add_f32_e32 v54, v54, v78
	s_waitcnt lgkmcnt(1)
	v_add_f32_e32 v46, v46, v73
	ds_bpermute_b32 v73, v2, v75
	v_cndmask_b32_e64 v75, -v75, v75, s[16:17]
	ds_bpermute_b32 v78, v2, v44
	v_cndmask_b32_e64 v51, -v51, v51, s[16:17]
	s_waitcnt lgkmcnt(2)
	v_add_f32_e32 v51, v51, v79
	;; [unrolled: 8-line block ×3, first 2 shown]
	s_waitcnt lgkmcnt(1)
	v_add_f32_e32 v49, v49, v75
	v_xor_b32_e32 v75, 4, v3
	v_cmp_lt_i32_e64 s[4:5], v75, v4
	v_cndmask_b32_e64 v75, v3, v75, s[4:5]
	v_lshlrev_b32_e32 v75, 2, v75
	ds_bpermute_b32 v78, v75, v52
	v_cndmask_b32_e64 v47, -v47, v47, s[16:17]
	s_waitcnt lgkmcnt(1)
	v_add_f32_e32 v47, v47, v79
	v_and_b32_e32 v79, 4, v0
	v_cmp_eq_u32_e64 s[4:5], 0, v79
	v_cndmask_b32_e64 v52, -v52, v52, s[4:5]
	s_waitcnt lgkmcnt(0)
	v_add_f32_e32 v52, v52, v78
	ds_bpermute_b32 v78, v75, v57
	v_cndmask_b32_e64 v57, -v57, v57, s[4:5]
	ds_bpermute_b32 v79, v75, v55
	v_cndmask_b32_e64 v55, -v55, v55, s[4:5]
	ds_bpermute_b32 v80, v75, v51
	s_waitcnt lgkmcnt(2)
	v_add_f32_e32 v57, v57, v78
	ds_bpermute_b32 v78, v75, v56
	v_cndmask_b32_e64 v56, -v56, v56, s[4:5]
	s_waitcnt lgkmcnt(2)
	v_add_f32_e32 v55, v55, v79
	ds_bpermute_b32 v79, v75, v53
	v_cndmask_b32_e64 v53, -v53, v53, s[4:5]
	;; [unrolled: 4-line block ×58, first 2 shown]
	s_waitcnt lgkmcnt(1)
	v_add_f32_e32 v73, v73, v78
	ds_bpermute_b32 v78, v75, v49
	ds_bpermute_b32 v75, v75, v47
	v_cndmask_b32_e64 v47, -v47, v47, s[4:5]
	v_cndmask_b32_e64 v44, -v44, v44, s[4:5]
	;; [unrolled: 1-line block ×3, first 2 shown]
	s_waitcnt lgkmcnt(1)
	v_add_f32_e32 v49, v49, v78
	s_waitcnt lgkmcnt(0)
	v_add_f32_e32 v47, v47, v75
	v_xor_b32_e32 v75, 8, v3
	v_cmp_lt_i32_e64 s[4:5], v75, v4
	v_cndmask_b32_e64 v75, v3, v75, s[4:5]
	v_lshlrev_b32_e32 v75, 2, v75
	ds_bpermute_b32 v78, v75, v52
	v_add_f32_e32 v44, v44, v79
	v_and_b32_e32 v79, 8, v0
	v_cmp_eq_u32_e64 s[4:5], 0, v79
	v_cndmask_b32_e64 v52, -v52, v52, s[4:5]
	s_waitcnt lgkmcnt(0)
	v_add_f32_e32 v52, v52, v78
	ds_bpermute_b32 v78, v75, v57
	v_cndmask_b32_e64 v57, -v57, v57, s[4:5]
	ds_bpermute_b32 v79, v75, v55
	v_cndmask_b32_e64 v55, -v55, v55, s[4:5]
	v_add_f32_e32 v51, v51, v80
	s_waitcnt lgkmcnt(1)
	v_add_f32_e32 v57, v57, v78
	ds_bpermute_b32 v78, v75, v56
	v_cndmask_b32_e64 v56, -v56, v56, s[4:5]
	s_waitcnt lgkmcnt(1)
	v_add_f32_e32 v55, v55, v79
	ds_bpermute_b32 v79, v75, v53
	v_cndmask_b32_e64 v53, -v53, v53, s[4:5]
	;; [unrolled: 4-line block ×57, first 2 shown]
	ds_bpermute_b32 v80, v75, v51
	s_waitcnt lgkmcnt(2)
	v_add_f32_e32 v54, v54, v79
	ds_bpermute_b32 v79, v75, v44
	s_waitcnt lgkmcnt(2)
	v_add_f32_e32 v73, v73, v78
	ds_bpermute_b32 v78, v75, v49
	ds_bpermute_b32 v75, v75, v47
	v_cndmask_b32_e64 v47, -v47, v47, s[4:5]
	v_cndmask_b32_e64 v51, -v51, v51, s[4:5]
	;; [unrolled: 1-line block ×4, first 2 shown]
	s_waitcnt lgkmcnt(0)
	v_add_f32_e32 v47, v47, v75
	v_xor_b32_e32 v75, 16, v3
	v_cmp_lt_i32_e64 s[4:5], v75, v4
	v_cndmask_b32_e64 v75, v3, v75, s[4:5]
	v_lshlrev_b32_e32 v75, 2, v75
	v_add_f32_e32 v49, v49, v78
	ds_bpermute_b32 v78, v75, v52
	v_add_f32_e32 v44, v44, v79
	v_and_b32_e32 v79, 16, v0
	v_cmp_eq_u32_e64 s[4:5], 0, v79
	v_cndmask_b32_e64 v52, -v52, v52, s[4:5]
	s_waitcnt lgkmcnt(0)
	v_add_f32_e32 v52, v52, v78
	ds_bpermute_b32 v78, v75, v57
	ds_bpermute_b32 v79, v75, v55
	v_cndmask_b32_e64 v57, -v57, v57, s[4:5]
	v_cndmask_b32_e64 v55, -v55, v55, s[4:5]
	v_add_f32_e32 v51, v51, v80
	s_waitcnt lgkmcnt(1)
	v_add_f32_e32 v57, v57, v78
	ds_bpermute_b32 v78, v75, v56
	s_waitcnt lgkmcnt(1)
	v_add_f32_e32 v55, v55, v79
	ds_bpermute_b32 v79, v75, v53
	v_cndmask_b32_e64 v56, -v56, v56, s[4:5]
	v_cndmask_b32_e64 v53, -v53, v53, s[4:5]
	s_waitcnt lgkmcnt(1)
	v_add_f32_e32 v56, v56, v78
	ds_bpermute_b32 v78, v75, v59
	s_waitcnt lgkmcnt(1)
	v_add_f32_e32 v53, v53, v79
	ds_bpermute_b32 v79, v75, v77
	v_cndmask_b32_e64 v59, -v59, v59, s[4:5]
	v_cndmask_b32_e64 v77, -v77, v77, s[4:5]
	;; [unrolled: 8-line block ×4, first 2 shown]
	s_waitcnt lgkmcnt(1)
	v_add_f32_e32 v61, v61, v78
	ds_bpermute_b32 v78, v75, v62
	ds_bpermute_b32 v80, v75, v51
	s_waitcnt lgkmcnt(2)
	v_add_f32_e32 v79, v6, v79
	ds_bpermute_b32 v6, v75, v9
	v_cndmask_b32_e64 v62, -v62, v62, s[4:5]
	s_waitcnt lgkmcnt(2)
	v_add_f32_e32 v62, v62, v78
	ds_bpermute_b32 v78, v75, v7
	v_cndmask_b32_e64 v51, -v51, v51, s[4:5]
	v_cndmask_b32_e64 v9, -v9, v9, s[4:5]
	s_waitcnt lgkmcnt(2)
	v_add_f32_e32 v51, v51, v80
	s_waitcnt lgkmcnt(1)
	v_add_f32_e32 v80, v9, v6
	ds_bpermute_b32 v6, v75, v13
	v_cndmask_b32_e64 v7, -v7, v7, s[4:5]
	s_waitcnt lgkmcnt(1)
	v_add_f32_e32 v78, v7, v78
	ds_bpermute_b32 v7, v75, v63
	v_cndmask_b32_e64 v9, -v13, v13, s[4:5]
	;; [unrolled: 4-line block ×46, first 2 shown]
	s_waitcnt lgkmcnt(1)
	v_add_f32_e32 v119, v7, v6
	v_cndmask_b32_e64 v6, -v73, v73, s[4:5]
	ds_bpermute_b32 v7, v75, v44
	s_waitcnt lgkmcnt(1)
	v_add_f32_e32 v120, v6, v5
	ds_bpermute_b32 v5, v75, v49
	ds_bpermute_b32 v8, v75, v47
	v_cndmask_b32_e64 v6, -v44, v44, s[4:5]
	s_waitcnt lgkmcnt(2)
	v_add_f32_e32 v121, v6, v7
	v_cndmask_b32_e64 v6, -v49, v49, s[4:5]
	s_waitcnt lgkmcnt(1)
	v_add_f32_e32 v122, v6, v5
	;; [unrolled: 3-line block ×3, first 2 shown]
	v_xor_b32_e32 v5, 32, v3
	v_cmp_lt_i32_e64 s[4:5], v5, v4
	v_cndmask_b32_e64 v3, v3, v5, s[4:5]
	v_lshlrev_b32_e32 v124, 2, v3
	ds_bpermute_b32 v3, v124, v52
	ds_bpermute_b32 v5, v124, v51
	v_and_b32_e32 v4, 32, v0
	ds_bpermute_b32 v6, v124, v57
	v_cmp_eq_u32_e64 s[4:5], 0, v4
	ds_bpermute_b32 v7, v124, v55
	v_cndmask_b32_e64 v4, -v52, v52, s[4:5]
	ds_bpermute_b32 v8, v124, v56
	s_waitcnt lgkmcnt(4)
	v_add_f32_e32 v3, v4, v3
	v_cndmask_b32_e64 v4, -v51, v51, s[4:5]
	ds_bpermute_b32 v9, v124, v53
	s_waitcnt lgkmcnt(4)
	v_add_f32_e32 v4, v4, v5
	;; [unrolled: 4-line block ×34, first 2 shown]
	v_cndmask_b32_e64 v39, -v96, v96, s[4:5]
	ds_bpermute_b32 v44, v124, v100
	ds_bpermute_b32 v45, v124, v32
	s_waitcnt lgkmcnt(5)
	v_add_f32_e32 v39, v39, v40
	v_cndmask_b32_e64 v40, -v97, v97, s[4:5]
	s_waitcnt lgkmcnt(4)
	v_add_f32_e32 v40, v40, v41
	v_cndmask_b32_e64 v41, -v98, v98, s[4:5]
	;; [unrolled: 3-line block ×4, first 2 shown]
	ds_bpermute_b32 v46, v124, v101
	v_cndmask_b32_e64 v32, -v32, v32, s[4:5]
	s_waitcnt lgkmcnt(2)
	v_add_f32_e32 v43, v43, v44
	s_waitcnt lgkmcnt(1)
	v_add_f32_e32 v44, v32, v45
	ds_bpermute_b32 v32, v124, v102
	v_cndmask_b32_e64 v45, -v101, v101, s[4:5]
	s_waitcnt lgkmcnt(1)
	v_add_f32_e32 v45, v45, v46
	ds_bpermute_b32 v47, v124, v103
	v_cndmask_b32_e64 v46, -v102, v102, s[4:5]
	;; [unrolled: 4-line block ×5, first 2 shown]
	s_waitcnt lgkmcnt(1)
	v_add_f32_e32 v49, v50, v49
	v_cndmask_b32_e64 v50, -v106, v106, s[4:5]
	ds_bpermute_b32 v51, v124, v107
	s_waitcnt lgkmcnt(1)
	v_add_f32_e32 v50, v50, v32
	ds_bpermute_b32 v32, v124, v31
	ds_bpermute_b32 v53, v124, v108
	v_cndmask_b32_e64 v52, -v107, v107, s[4:5]
	v_cndmask_b32_e64 v31, -v31, v31, s[4:5]
	s_waitcnt lgkmcnt(2)
	v_add_f32_e32 v51, v52, v51
	s_waitcnt lgkmcnt(1)
	v_add_f32_e32 v52, v31, v32
	ds_bpermute_b32 v31, v124, v109
	v_cndmask_b32_e64 v32, -v108, v108, s[4:5]
	s_waitcnt lgkmcnt(1)
	v_add_f32_e32 v53, v32, v53
	ds_bpermute_b32 v32, v124, v110
	v_cndmask_b32_e64 v54, -v109, v109, s[4:5]
	;; [unrolled: 4-line block ×12, first 2 shown]
	s_waitcnt lgkmcnt(1)
	v_add_f32_e32 v79, v57, v31
	v_cndmask_b32_e64 v31, -v120, v120, s[4:5]
	ds_bpermute_b32 v57, v124, v121
	s_waitcnt lgkmcnt(1)
	v_add_f32_e32 v80, v31, v32
	ds_bpermute_b32 v31, v124, v122
	ds_bpermute_b32 v58, v124, v123
	v_cndmask_b32_e64 v32, -v121, v121, s[4:5]
	s_waitcnt lgkmcnt(2)
	v_add_f32_e32 v81, v32, v57
	v_cndmask_b32_e64 v32, -v122, v122, s[4:5]
	s_waitcnt lgkmcnt(1)
	v_add_f32_e32 v82, v32, v31
	;; [unrolled: 3-line block ×3, first 2 shown]
	v_lshrrev_b32_e32 v31, 6, v0
	v_and_b32_e32 v32, 3, v0
	v_lshrrev_b32_e32 v57, 2, v0
	v_xor_b32_e32 v0, v31, v0
	v_lshl_add_u32 v60, v0, 4, 0
	v_lshl_or_b32 v0, v32, 6, v57
	v_xor_b32_e32 v0, v0, v32
	v_lshl_add_u32 v32, v0, 4, 0
	s_barrier
	ds_write_b128 v60, v[3:6]
	ds_write_b128 v60, v[7:10] offset:4096
	ds_write_b128 v60, v[11:14] offset:8192
	;; [unrolled: 1-line block ×7, first 2 shown]
	s_waitcnt lgkmcnt(0)
	s_barrier
	ds_read_b128 v[3:6], v32
	ds_read_b128 v[7:10], v32 offset:4096
	ds_read_b128 v[11:14], v32 offset:8192
	;; [unrolled: 1-line block ×7, first 2 shown]
	s_waitcnt lgkmcnt(7)
	ds_bpermute_b32 v0, v1, v3
	ds_bpermute_b32 v31, v1, v4
	v_cndmask_b32_e64 v3, -v3, v3, s[14:15]
	v_cndmask_b32_e64 v4, -v4, v4, s[14:15]
	s_waitcnt lgkmcnt(0)
	v_add_f32_e32 v0, v3, v0
	ds_bpermute_b32 v3, v1, v5
	v_add_f32_e32 v4, v4, v31
	ds_bpermute_b32 v31, v1, v6
	v_cndmask_b32_e64 v5, -v5, v5, s[14:15]
	v_cndmask_b32_e64 v6, -v6, v6, s[14:15]
	s_waitcnt lgkmcnt(1)
	v_add_f32_e32 v5, v5, v3
	ds_bpermute_b32 v3, v1, v7
	s_waitcnt lgkmcnt(1)
	v_add_f32_e32 v6, v6, v31
	ds_bpermute_b32 v31, v1, v8
	v_cndmask_b32_e64 v7, -v7, v7, s[14:15]
	v_cndmask_b32_e64 v8, -v8, v8, s[14:15]
	s_waitcnt lgkmcnt(1)
	v_add_f32_e32 v7, v7, v3
	ds_bpermute_b32 v3, v1, v9
	s_waitcnt lgkmcnt(1)
	;; [unrolled: 8-line block ×14, first 2 shown]
	v_add_f32_e32 v31, v34, v31
	ds_bpermute_b32 v34, v1, v36
	v_cndmask_b32_e64 v35, -v35, v35, s[14:15]
	s_waitcnt lgkmcnt(0)
	s_barrier
	ds_write_b128 v60, v[37:40]
	ds_write_b128 v60, v[41:44] offset:4096
	ds_write_b128 v60, v[45:48] offset:8192
	;; [unrolled: 1-line block ×7, first 2 shown]
	s_waitcnt lgkmcnt(0)
	s_barrier
	ds_read_b128 v[37:40], v32
	ds_read_b128 v[41:44], v32 offset:4096
	ds_read_b128 v[45:48], v32 offset:8192
	;; [unrolled: 1-line block ×5, first 2 shown]
	v_add_f32_e32 v35, v35, v3
	s_waitcnt lgkmcnt(5)
	ds_bpermute_b32 v3, v1, v37
	v_cndmask_b32_e64 v36, -v36, v36, s[14:15]
	v_add_f32_e32 v36, v36, v34
	ds_bpermute_b32 v34, v1, v38
	v_cndmask_b32_e64 v37, -v37, v37, s[14:15]
	s_waitcnt lgkmcnt(1)
	v_add_f32_e32 v37, v37, v3
	ds_bpermute_b32 v3, v1, v39
	v_cndmask_b32_e64 v38, -v38, v38, s[14:15]
	s_waitcnt lgkmcnt(1)
	;; [unrolled: 4-line block ×21, first 2 shown]
	v_add_f32_e32 v57, v57, v3
	ds_bpermute_b32 v3, v1, v74
	ds_read_b128 v[76:79], v32 offset:24576
	ds_read_b128 v[80:83], v32 offset:28672
	v_cndmask_b32_e64 v58, -v73, v73, s[14:15]
	s_waitcnt lgkmcnt(3)
	v_add_f32_e32 v58, v58, v34
	ds_bpermute_b32 v34, v1, v75
	v_cndmask_b32_e64 v59, -v74, v74, s[14:15]
	s_waitcnt lgkmcnt(3)
	v_add_f32_e32 v59, v59, v3
	s_waitcnt lgkmcnt(2)
	ds_bpermute_b32 v3, v1, v76
	v_cndmask_b32_e64 v61, -v75, v75, s[14:15]
	s_waitcnt lgkmcnt(1)
	v_add_f32_e32 v61, v61, v34
	ds_bpermute_b32 v34, v1, v77
	v_cndmask_b32_e64 v62, -v76, v76, s[14:15]
	s_waitcnt lgkmcnt(1)
	v_add_f32_e32 v62, v62, v3
	;; [unrolled: 4-line block ×69, first 2 shown]
	v_cndmask_b32_e64 v31, -v74, v74, s[16:17]
	ds_bpermute_b32 v57, v2, v75
	s_waitcnt lgkmcnt(1)
	v_add_f32_e32 v104, v31, v0
	ds_bpermute_b32 v0, v2, v76
	ds_bpermute_b32 v2, v2, v1
	v_cndmask_b32_e64 v31, -v75, v75, s[16:17]
	s_waitcnt lgkmcnt(2)
	v_add_f32_e32 v105, v31, v57
	v_cndmask_b32_e64 v31, -v76, v76, s[16:17]
	s_waitcnt lgkmcnt(1)
	v_add_f32_e32 v106, v31, v0
	;; [unrolled: 3-line block ×3, first 2 shown]
	s_barrier
	ds_write_b128 v32, v[3:6]
	ds_write_b128 v32, v[7:10] offset:4096
	ds_write_b128 v32, v[11:14] offset:8192
	;; [unrolled: 1-line block ×7, first 2 shown]
	s_waitcnt lgkmcnt(0)
	s_barrier
	ds_read_b128 v[0:3], v60
	ds_read_b128 v[8:11], v60 offset:8192
	ds_read_b128 v[4:7], v60 offset:16384
	;; [unrolled: 1-line block ×7, first 2 shown]
	s_waitcnt lgkmcnt(0)
	s_barrier
	ds_write_b128 v32, v[37:40]
	ds_write_b128 v32, v[41:44] offset:4096
	ds_write_b128 v32, v[45:48] offset:8192
	;; [unrolled: 1-line block ×7, first 2 shown]
	s_waitcnt lgkmcnt(0)
	s_barrier
	ds_read_b128 v[32:35], v60
	ds_read_b128 v[40:43], v60 offset:8192
	ds_read_b128 v[36:39], v60 offset:4096
	;; [unrolled: 1-line block ×7, first 2 shown]
	s_mul_i32 s4, s26, s7
	s_mul_hi_u32 s5, s26, s6
	s_add_i32 s4, s5, s4
	s_mul_i32 s5, s27, s6
	s_add_i32 s5, s4, s5
	s_mul_i32 s4, s26, s6
	s_lshl_b64 s[4:5], s[4:5], 1
	s_add_u32 s6, s22, s4
	v_add_f32_e32 v88, v0, v8
	v_add_f32_e32 v89, v1, v9
	;; [unrolled: 1-line block ×16, first 2 shown]
	s_waitcnt lgkmcnt(6)
	v_add_f32_e32 v104, v32, v40
	v_add_f32_e32 v105, v33, v41
	v_add_f32_e32 v106, v34, v42
	v_add_f32_e32 v107, v35, v43
	s_waitcnt lgkmcnt(4)
	v_add_f32_e32 v108, v36, v44
	v_add_f32_e32 v109, v37, v45
	v_add_f32_e32 v110, v38, v46
	v_add_f32_e32 v111, v39, v47
	;; [unrolled: 5-line block ×4, first 2 shown]
	s_addc_u32 s7, s23, s5
	v_add_f32_e32 v72, v88, v90
	v_add_f32_e32 v73, v89, v91
	;; [unrolled: 1-line block ×16, first 2 shown]
	s_and_saveexec_b64 s[14:15], s[12:13]
	s_cbranch_execz .LBB37_18
; %bb.17:
	v_add_f32_e32 v120, v87, v79
	v_mul_f32_e32 v120, s24, v120
	v_add_f32_e32 v121, v86, v78
	v_bfe_u32 v128, v120, 16, 1
	s_movk_i32 s12, 0x7fff
	v_add3_u32 v128, v128, v120, s12
	v_or_b32_e32 v129, 0x400000, v120
	v_cmp_u_f32_e64 s[4:5], v120, v120
	v_mul_f32_e32 v121, s24, v121
	v_add_f32_e32 v122, v85, v77
	v_cndmask_b32_e64 v120, v128, v129, s[4:5]
	v_bfe_u32 v128, v121, 16, 1
	v_add3_u32 v128, v128, v121, s12
	v_or_b32_e32 v129, 0x400000, v121
	v_cmp_u_f32_e64 s[4:5], v121, v121
	v_mul_f32_e32 v122, s24, v122
	v_add_f32_e32 v123, v84, v76
	v_cndmask_b32_e64 v121, v128, v129, s[4:5]
	v_bfe_u32 v128, v122, 16, 1
	;; [unrolled: 7-line block ×3, first 2 shown]
	v_add3_u32 v128, v128, v123, s12
	v_or_b32_e32 v129, 0x400000, v123
	v_cmp_u_f32_e64 s[4:5], v123, v123
	v_mul_f32_e32 v123, s24, v124
	v_add_f32_e32 v125, v82, v74
	v_bfe_u32 v124, v123, 16, 1
	v_cndmask_b32_e64 v128, v128, v129, s[4:5]
	v_add3_u32 v124, v124, v123, s12
	v_or_b32_e32 v129, 0x400000, v123
	v_cmp_u_f32_e64 s[4:5], v123, v123
	v_mul_f32_e32 v123, s24, v125
	v_add_f32_e32 v126, v81, v73
	v_bfe_u32 v125, v123, 16, 1
	v_cndmask_b32_e64 v124, v124, v129, s[4:5]
	;; [unrolled: 7-line block ×3, first 2 shown]
	v_add3_u32 v126, v126, v123, s12
	v_or_b32_e32 v129, 0x400000, v123
	v_cmp_u_f32_e64 s[4:5], v123, v123
	v_mul_f32_e32 v123, s24, v127
	v_bfe_u32 v127, v123, 16, 1
	v_cndmask_b32_e64 v126, v126, v129, s[4:5]
	v_add3_u32 v127, v127, v123, s12
	v_or_b32_e32 v129, 0x400000, v123
	v_cmp_u_f32_e64 s[4:5], v123, v123
	v_cndmask_b32_e64 v127, v127, v129, s[4:5]
	s_mov_b32 s4, 0x7060302
	v_perm_b32 v123, v120, v121, s4
	v_perm_b32 v122, v122, v128, s4
	;; [unrolled: 1-line block ×4, first 2 shown]
	global_store_dwordx4 v71, v[120:123], s[6:7]
.LBB37_18:
	s_or_b64 exec, exec, s[14:15]
	v_sub_f32_e32 v71, v1, v9
	v_sub_f32_e32 v120, v0, v8
	;; [unrolled: 1-line block ×32, first 2 shown]
	v_add_f32_e32 v0, v120, v122
	v_add_f32_e32 v1, v71, v121
	;; [unrolled: 1-line block ×16, first 2 shown]
	s_and_saveexec_b64 s[12:13], s[10:11]
	s_cbranch_execz .LBB37_20
; %bb.19:
	v_add_f32_e32 v16, v8, v0
	v_mul_f32_e32 v16, s24, v16
	v_add_f32_e32 v17, v9, v1
	v_bfe_u32 v24, v16, 16, 1
	s_movk_i32 s10, 0x7fff
	v_add3_u32 v24, v24, v16, s10
	v_or_b32_e32 v25, 0x400000, v16
	v_cmp_u_f32_e64 s[4:5], v16, v16
	v_mul_f32_e32 v17, s24, v17
	v_add_f32_e32 v18, v10, v2
	v_cndmask_b32_e64 v16, v24, v25, s[4:5]
	v_bfe_u32 v24, v17, 16, 1
	v_add3_u32 v24, v24, v17, s10
	v_or_b32_e32 v25, 0x400000, v17
	v_cmp_u_f32_e64 s[4:5], v17, v17
	v_mul_f32_e32 v17, s24, v18
	v_bfe_u32 v18, v17, 16, 1
	v_add_f32_e32 v19, v11, v3
	v_cndmask_b32_e64 v24, v24, v25, s[4:5]
	v_add3_u32 v18, v18, v17, s10
	v_or_b32_e32 v25, 0x400000, v17
	v_cmp_u_f32_e64 s[4:5], v17, v17
	v_cndmask_b32_e64 v17, v18, v25, s[4:5]
	v_mul_f32_e32 v18, s24, v19
	v_add_f32_e32 v20, v12, v4
	v_bfe_u32 v19, v18, 16, 1
	v_add3_u32 v19, v19, v18, s10
	v_or_b32_e32 v25, 0x400000, v18
	v_cmp_u_f32_e64 s[4:5], v18, v18
	v_mul_f32_e32 v18, s24, v20
	v_cndmask_b32_e64 v25, v19, v25, s[4:5]
	v_bfe_u32 v19, v18, 16, 1
	v_add_f32_e32 v21, v13, v5
	v_add3_u32 v19, v19, v18, s10
	v_or_b32_e32 v20, 0x400000, v18
	v_cmp_u_f32_e64 s[4:5], v18, v18
	v_cndmask_b32_e64 v18, v19, v20, s[4:5]
	v_mul_f32_e32 v19, s24, v21
	v_add_f32_e32 v22, v14, v6
	v_bfe_u32 v20, v19, 16, 1
	v_add3_u32 v20, v20, v19, s10
	v_or_b32_e32 v21, 0x400000, v19
	v_cmp_u_f32_e64 s[4:5], v19, v19
	v_mul_f32_e32 v19, s24, v22
	v_cndmask_b32_e64 v20, v20, v21, s[4:5]
	v_bfe_u32 v21, v19, 16, 1
	v_add_f32_e32 v23, v15, v7
	v_add3_u32 v21, v21, v19, s10
	v_or_b32_e32 v22, 0x400000, v19
	v_cmp_u_f32_e64 s[4:5], v19, v19
	v_cndmask_b32_e64 v19, v21, v22, s[4:5]
	v_mul_f32_e32 v21, s24, v23
	v_bfe_u32 v22, v21, 16, 1
	v_add3_u32 v22, v22, v21, s10
	v_or_b32_e32 v23, 0x400000, v21
	v_cmp_u_f32_e64 s[4:5], v21, v21
	v_cndmask_b32_e64 v21, v22, v23, s[4:5]
	s_mov_b32 s4, 0x7060302
	v_perm_b32 v19, v21, v19, s4
	v_perm_b32 v18, v20, v18, s4
	;; [unrolled: 1-line block ×4, first 2 shown]
	global_store_dwordx4 v70, v[16:19], s[6:7]
.LBB37_20:
	s_or_b64 exec, exec, s[12:13]
	v_sub_f32_e32 v16, v88, v90
	v_sub_f32_e32 v17, v89, v91
	;; [unrolled: 1-line block ×16, first 2 shown]
	s_and_saveexec_b64 s[10:11], s[8:9]
	s_cbranch_execz .LBB37_22
; %bb.21:
	v_add_f32_e32 v32, v16, v24
	v_mul_f32_e32 v32, s24, v32
	v_add_f32_e32 v33, v17, v25
	v_bfe_u32 v52, v32, 16, 1
	s_movk_i32 s8, 0x7fff
	v_add3_u32 v52, v52, v32, s8
	v_or_b32_e32 v53, 0x400000, v32
	v_cmp_u_f32_e64 s[4:5], v32, v32
	v_mul_f32_e32 v33, s24, v33
	v_add_f32_e32 v34, v18, v26
	v_cndmask_b32_e64 v32, v52, v53, s[4:5]
	v_bfe_u32 v52, v33, 16, 1
	v_add3_u32 v52, v52, v33, s8
	v_or_b32_e32 v53, 0x400000, v33
	v_cmp_u_f32_e64 s[4:5], v33, v33
	v_mul_f32_e32 v33, s24, v34
	v_bfe_u32 v34, v33, 16, 1
	v_add_f32_e32 v35, v19, v27
	v_cndmask_b32_e64 v52, v52, v53, s[4:5]
	v_add3_u32 v34, v34, v33, s8
	v_or_b32_e32 v53, 0x400000, v33
	v_cmp_u_f32_e64 s[4:5], v33, v33
	v_cndmask_b32_e64 v33, v34, v53, s[4:5]
	v_mul_f32_e32 v34, s24, v35
	v_add_f32_e32 v36, v20, v28
	v_bfe_u32 v35, v34, 16, 1
	v_add3_u32 v35, v35, v34, s8
	v_or_b32_e32 v53, 0x400000, v34
	v_cmp_u_f32_e64 s[4:5], v34, v34
	v_mul_f32_e32 v34, s24, v36
	v_cndmask_b32_e64 v53, v35, v53, s[4:5]
	v_bfe_u32 v35, v34, 16, 1
	v_add_f32_e32 v37, v21, v29
	v_add3_u32 v35, v35, v34, s8
	v_or_b32_e32 v36, 0x400000, v34
	v_cmp_u_f32_e64 s[4:5], v34, v34
	v_cndmask_b32_e64 v34, v35, v36, s[4:5]
	v_mul_f32_e32 v35, s24, v37
	v_add_f32_e32 v38, v22, v30
	v_bfe_u32 v36, v35, 16, 1
	v_add3_u32 v36, v36, v35, s8
	v_or_b32_e32 v37, 0x400000, v35
	v_cmp_u_f32_e64 s[4:5], v35, v35
	v_mul_f32_e32 v35, s24, v38
	v_cndmask_b32_e64 v36, v36, v37, s[4:5]
	v_bfe_u32 v37, v35, 16, 1
	v_add_f32_e32 v39, v23, v31
	v_add3_u32 v37, v37, v35, s8
	v_or_b32_e32 v38, 0x400000, v35
	v_cmp_u_f32_e64 s[4:5], v35, v35
	v_cndmask_b32_e64 v35, v37, v38, s[4:5]
	v_mul_f32_e32 v37, s24, v39
	v_bfe_u32 v38, v37, 16, 1
	v_add3_u32 v38, v38, v37, s8
	v_or_b32_e32 v39, 0x400000, v37
	v_cmp_u_f32_e64 s[4:5], v37, v37
	v_cndmask_b32_e64 v37, v38, v39, s[4:5]
	s_mov_b32 s4, 0x7060302
	v_perm_b32 v35, v37, v35, s4
	v_perm_b32 v34, v36, v34, s4
	;; [unrolled: 1-line block ×4, first 2 shown]
	global_store_dwordx4 v69, v[32:35], s[6:7]
.LBB37_22:
	s_or_b64 exec, exec, s[10:11]
	v_sub_f32_e32 v32, v71, v121
	v_sub_f32_e32 v36, v120, v122
	v_sub_f32_e32 v33, v123, v125
	v_sub_f32_e32 v37, v124, v126
	v_sub_f32_e32 v34, v127, v129
	v_sub_f32_e32 v38, v128, v130
	v_sub_f32_e32 v35, v131, v133
	v_sub_f32_e32 v39, v132, v134
	v_sub_f32_e32 v40, v41, v40
	v_sub_f32_e32 v44, v135, v44
	v_sub_f32_e32 v41, v43, v45
	v_sub_f32_e32 v45, v42, v46
	v_sub_f32_e32 v42, v136, v49
	v_sub_f32_e32 v46, v137, v48
	v_sub_f32_e32 v43, v47, v51
	v_sub_f32_e32 v47, v138, v50
	s_and_saveexec_b64 s[8:9], s[20:21]
	s_cbranch_execnz .LBB37_28
; %bb.23:
	s_or_b64 exec, exec, s[8:9]
	s_and_saveexec_b64 s[8:9], s[18:19]
	s_cbranch_execnz .LBB37_29
.LBB37_24:
	s_or_b64 exec, exec, s[8:9]
	s_and_saveexec_b64 s[4:5], s[2:3]
	s_cbranch_execnz .LBB37_30
.LBB37_25:
	s_or_b64 exec, exec, s[4:5]
	s_and_saveexec_b64 s[2:3], s[0:1]
	s_cbranch_execnz .LBB37_31
.LBB37_26:
	s_or_b64 exec, exec, s[2:3]
	s_and_saveexec_b64 s[0:1], vcc
	s_cbranch_execnz .LBB37_32
.LBB37_27:
	s_endpgm
.LBB37_28:
	v_add_f32_e32 v48, v36, v44
	v_mul_f32_e32 v48, s24, v48
	v_add_f32_e32 v49, v32, v40
	v_bfe_u32 v56, v48, 16, 1
	s_movk_i32 s10, 0x7fff
	v_add3_u32 v56, v56, v48, s10
	v_or_b32_e32 v57, 0x400000, v48
	v_cmp_u_f32_e64 s[4:5], v48, v48
	v_mul_f32_e32 v49, s24, v49
	v_add_f32_e32 v50, v37, v45
	v_cndmask_b32_e64 v48, v56, v57, s[4:5]
	v_bfe_u32 v56, v49, 16, 1
	v_add3_u32 v56, v56, v49, s10
	v_or_b32_e32 v57, 0x400000, v49
	v_cmp_u_f32_e64 s[4:5], v49, v49
	v_mul_f32_e32 v49, s24, v50
	v_bfe_u32 v50, v49, 16, 1
	v_add_f32_e32 v51, v33, v41
	v_cndmask_b32_e64 v56, v56, v57, s[4:5]
	v_add3_u32 v50, v50, v49, s10
	v_or_b32_e32 v57, 0x400000, v49
	v_cmp_u_f32_e64 s[4:5], v49, v49
	v_cndmask_b32_e64 v49, v50, v57, s[4:5]
	v_mul_f32_e32 v50, s24, v51
	v_add_f32_e32 v52, v38, v46
	v_bfe_u32 v51, v50, 16, 1
	v_add3_u32 v51, v51, v50, s10
	v_or_b32_e32 v57, 0x400000, v50
	v_cmp_u_f32_e64 s[4:5], v50, v50
	v_mul_f32_e32 v50, s24, v52
	v_cndmask_b32_e64 v57, v51, v57, s[4:5]
	v_bfe_u32 v51, v50, 16, 1
	v_add_f32_e32 v53, v34, v42
	v_add3_u32 v51, v51, v50, s10
	v_or_b32_e32 v52, 0x400000, v50
	v_cmp_u_f32_e64 s[4:5], v50, v50
	v_cndmask_b32_e64 v50, v51, v52, s[4:5]
	v_mul_f32_e32 v51, s24, v53
	v_add_f32_e32 v54, v39, v47
	v_bfe_u32 v52, v51, 16, 1
	v_add3_u32 v52, v52, v51, s10
	v_or_b32_e32 v53, 0x400000, v51
	v_cmp_u_f32_e64 s[4:5], v51, v51
	v_mul_f32_e32 v51, s24, v54
	v_cndmask_b32_e64 v52, v52, v53, s[4:5]
	v_bfe_u32 v53, v51, 16, 1
	v_add_f32_e32 v55, v35, v43
	v_add3_u32 v53, v53, v51, s10
	v_or_b32_e32 v54, 0x400000, v51
	v_cmp_u_f32_e64 s[4:5], v51, v51
	v_cndmask_b32_e64 v51, v53, v54, s[4:5]
	v_mul_f32_e32 v53, s24, v55
	v_bfe_u32 v54, v53, 16, 1
	v_add3_u32 v54, v54, v53, s10
	v_or_b32_e32 v55, 0x400000, v53
	v_cmp_u_f32_e64 s[4:5], v53, v53
	v_cndmask_b32_e64 v53, v54, v55, s[4:5]
	s_mov_b32 s4, 0x7060302
	v_perm_b32 v51, v53, v51, s4
	v_perm_b32 v50, v52, v50, s4
	;; [unrolled: 1-line block ×4, first 2 shown]
	global_store_dwordx4 v68, v[48:51], s[6:7]
	s_or_b64 exec, exec, s[8:9]
	s_and_saveexec_b64 s[8:9], s[18:19]
	s_cbranch_execz .LBB37_24
.LBB37_29:
	v_sub_f32_e32 v48, v72, v80
	v_mul_f32_e32 v48, s24, v48
	v_sub_f32_e32 v49, v73, v81
	v_bfe_u32 v56, v48, 16, 1
	s_movk_i32 s10, 0x7fff
	v_add3_u32 v56, v56, v48, s10
	v_or_b32_e32 v57, 0x400000, v48
	v_cmp_u_f32_e64 s[4:5], v48, v48
	v_mul_f32_e32 v49, s24, v49
	v_sub_f32_e32 v50, v74, v82
	v_cndmask_b32_e64 v48, v56, v57, s[4:5]
	v_bfe_u32 v56, v49, 16, 1
	v_add3_u32 v56, v56, v49, s10
	v_or_b32_e32 v57, 0x400000, v49
	v_cmp_u_f32_e64 s[4:5], v49, v49
	v_mul_f32_e32 v49, s24, v50
	v_bfe_u32 v50, v49, 16, 1
	v_sub_f32_e32 v51, v75, v83
	v_cndmask_b32_e64 v56, v56, v57, s[4:5]
	v_add3_u32 v50, v50, v49, s10
	v_or_b32_e32 v57, 0x400000, v49
	v_cmp_u_f32_e64 s[4:5], v49, v49
	v_cndmask_b32_e64 v49, v50, v57, s[4:5]
	v_mul_f32_e32 v50, s24, v51
	v_sub_f32_e32 v52, v76, v84
	v_bfe_u32 v51, v50, 16, 1
	v_add3_u32 v51, v51, v50, s10
	v_or_b32_e32 v57, 0x400000, v50
	v_cmp_u_f32_e64 s[4:5], v50, v50
	v_mul_f32_e32 v50, s24, v52
	v_cndmask_b32_e64 v57, v51, v57, s[4:5]
	v_bfe_u32 v51, v50, 16, 1
	v_sub_f32_e32 v53, v77, v85
	v_add3_u32 v51, v51, v50, s10
	v_or_b32_e32 v52, 0x400000, v50
	v_cmp_u_f32_e64 s[4:5], v50, v50
	v_cndmask_b32_e64 v50, v51, v52, s[4:5]
	v_mul_f32_e32 v51, s24, v53
	v_sub_f32_e32 v54, v78, v86
	v_bfe_u32 v52, v51, 16, 1
	v_add3_u32 v52, v52, v51, s10
	v_or_b32_e32 v53, 0x400000, v51
	v_cmp_u_f32_e64 s[4:5], v51, v51
	v_mul_f32_e32 v51, s24, v54
	v_cndmask_b32_e64 v52, v52, v53, s[4:5]
	v_bfe_u32 v53, v51, 16, 1
	v_sub_f32_e32 v55, v79, v87
	v_add3_u32 v53, v53, v51, s10
	v_or_b32_e32 v54, 0x400000, v51
	v_cmp_u_f32_e64 s[4:5], v51, v51
	v_cndmask_b32_e64 v51, v53, v54, s[4:5]
	v_mul_f32_e32 v53, s24, v55
	v_bfe_u32 v54, v53, 16, 1
	v_add3_u32 v54, v54, v53, s10
	v_or_b32_e32 v55, 0x400000, v53
	v_cmp_u_f32_e64 s[4:5], v53, v53
	v_cndmask_b32_e64 v53, v54, v55, s[4:5]
	s_mov_b32 s4, 0x7060302
	v_perm_b32 v51, v53, v51, s4
	v_perm_b32 v50, v52, v50, s4
	;; [unrolled: 1-line block ×4, first 2 shown]
	global_store_dwordx4 v67, v[48:51], s[6:7]
	s_or_b64 exec, exec, s[8:9]
	s_and_saveexec_b64 s[4:5], s[2:3]
	s_cbranch_execz .LBB37_25
.LBB37_30:
	v_sub_f32_e32 v0, v0, v8
	v_mul_f32_e32 v0, s24, v0
	v_sub_f32_e32 v1, v1, v9
	v_bfe_u32 v8, v0, 16, 1
	s_movk_i32 s8, 0x7fff
	v_add3_u32 v8, v8, v0, s8
	v_or_b32_e32 v9, 0x400000, v0
	v_cmp_u_f32_e64 s[2:3], v0, v0
	v_mul_f32_e32 v1, s24, v1
	v_sub_f32_e32 v2, v2, v10
	v_cndmask_b32_e64 v0, v8, v9, s[2:3]
	v_bfe_u32 v8, v1, 16, 1
	v_add3_u32 v8, v8, v1, s8
	v_or_b32_e32 v9, 0x400000, v1
	v_cmp_u_f32_e64 s[2:3], v1, v1
	v_mul_f32_e32 v1, s24, v2
	v_bfe_u32 v2, v1, 16, 1
	v_sub_f32_e32 v3, v3, v11
	v_cndmask_b32_e64 v8, v8, v9, s[2:3]
	v_add3_u32 v2, v2, v1, s8
	v_or_b32_e32 v9, 0x400000, v1
	v_cmp_u_f32_e64 s[2:3], v1, v1
	v_cndmask_b32_e64 v1, v2, v9, s[2:3]
	v_mul_f32_e32 v2, s24, v3
	v_sub_f32_e32 v4, v4, v12
	v_bfe_u32 v3, v2, 16, 1
	v_add3_u32 v3, v3, v2, s8
	v_or_b32_e32 v9, 0x400000, v2
	v_cmp_u_f32_e64 s[2:3], v2, v2
	v_mul_f32_e32 v2, s24, v4
	v_cndmask_b32_e64 v9, v3, v9, s[2:3]
	v_bfe_u32 v3, v2, 16, 1
	v_sub_f32_e32 v5, v5, v13
	v_add3_u32 v3, v3, v2, s8
	v_or_b32_e32 v4, 0x400000, v2
	v_cmp_u_f32_e64 s[2:3], v2, v2
	v_cndmask_b32_e64 v2, v3, v4, s[2:3]
	v_mul_f32_e32 v3, s24, v5
	v_sub_f32_e32 v6, v6, v14
	v_bfe_u32 v4, v3, 16, 1
	v_add3_u32 v4, v4, v3, s8
	v_or_b32_e32 v5, 0x400000, v3
	v_cmp_u_f32_e64 s[2:3], v3, v3
	v_mul_f32_e32 v3, s24, v6
	v_cndmask_b32_e64 v4, v4, v5, s[2:3]
	v_bfe_u32 v5, v3, 16, 1
	v_sub_f32_e32 v7, v7, v15
	v_add3_u32 v5, v5, v3, s8
	v_or_b32_e32 v6, 0x400000, v3
	v_cmp_u_f32_e64 s[2:3], v3, v3
	v_cndmask_b32_e64 v3, v5, v6, s[2:3]
	v_mul_f32_e32 v5, s24, v7
	v_bfe_u32 v6, v5, 16, 1
	v_add3_u32 v6, v6, v5, s8
	v_or_b32_e32 v7, 0x400000, v5
	v_cmp_u_f32_e64 s[2:3], v5, v5
	v_cndmask_b32_e64 v5, v6, v7, s[2:3]
	s_mov_b32 s2, 0x7060302
	v_perm_b32 v3, v5, v3, s2
	v_perm_b32 v2, v4, v2, s2
	;; [unrolled: 1-line block ×4, first 2 shown]
	global_store_dwordx4 v66, v[0:3], s[6:7]
	s_or_b64 exec, exec, s[4:5]
	s_and_saveexec_b64 s[2:3], s[0:1]
	s_cbranch_execz .LBB37_26
.LBB37_31:
	v_sub_f32_e32 v0, v16, v24
	v_mul_f32_e32 v0, s24, v0
	v_sub_f32_e32 v1, v17, v25
	v_bfe_u32 v8, v0, 16, 1
	s_movk_i32 s4, 0x7fff
	v_add3_u32 v8, v8, v0, s4
	v_or_b32_e32 v9, 0x400000, v0
	v_cmp_u_f32_e64 s[0:1], v0, v0
	v_mul_f32_e32 v1, s24, v1
	v_sub_f32_e32 v2, v18, v26
	v_cndmask_b32_e64 v0, v8, v9, s[0:1]
	v_bfe_u32 v8, v1, 16, 1
	v_add3_u32 v8, v8, v1, s4
	v_or_b32_e32 v9, 0x400000, v1
	v_cmp_u_f32_e64 s[0:1], v1, v1
	v_mul_f32_e32 v1, s24, v2
	v_bfe_u32 v2, v1, 16, 1
	v_sub_f32_e32 v3, v19, v27
	v_cndmask_b32_e64 v8, v8, v9, s[0:1]
	v_add3_u32 v2, v2, v1, s4
	v_or_b32_e32 v9, 0x400000, v1
	v_cmp_u_f32_e64 s[0:1], v1, v1
	v_cndmask_b32_e64 v1, v2, v9, s[0:1]
	v_mul_f32_e32 v2, s24, v3
	v_sub_f32_e32 v4, v20, v28
	v_bfe_u32 v3, v2, 16, 1
	v_add3_u32 v3, v3, v2, s4
	v_or_b32_e32 v9, 0x400000, v2
	v_cmp_u_f32_e64 s[0:1], v2, v2
	v_mul_f32_e32 v2, s24, v4
	v_cndmask_b32_e64 v9, v3, v9, s[0:1]
	v_bfe_u32 v3, v2, 16, 1
	v_sub_f32_e32 v5, v21, v29
	v_add3_u32 v3, v3, v2, s4
	v_or_b32_e32 v4, 0x400000, v2
	v_cmp_u_f32_e64 s[0:1], v2, v2
	v_cndmask_b32_e64 v2, v3, v4, s[0:1]
	v_mul_f32_e32 v3, s24, v5
	v_sub_f32_e32 v6, v22, v30
	v_bfe_u32 v4, v3, 16, 1
	v_add3_u32 v4, v4, v3, s4
	v_or_b32_e32 v5, 0x400000, v3
	v_cmp_u_f32_e64 s[0:1], v3, v3
	v_mul_f32_e32 v3, s24, v6
	v_cndmask_b32_e64 v4, v4, v5, s[0:1]
	v_bfe_u32 v5, v3, 16, 1
	v_sub_f32_e32 v7, v23, v31
	v_add3_u32 v5, v5, v3, s4
	v_or_b32_e32 v6, 0x400000, v3
	v_cmp_u_f32_e64 s[0:1], v3, v3
	v_cndmask_b32_e64 v3, v5, v6, s[0:1]
	v_mul_f32_e32 v5, s24, v7
	v_bfe_u32 v6, v5, 16, 1
	v_add3_u32 v6, v6, v5, s4
	v_or_b32_e32 v7, 0x400000, v5
	v_cmp_u_f32_e64 s[0:1], v5, v5
	v_cndmask_b32_e64 v5, v6, v7, s[0:1]
	s_mov_b32 s0, 0x7060302
	v_perm_b32 v3, v5, v3, s0
	v_perm_b32 v2, v4, v2, s0
	;; [unrolled: 1-line block ×4, first 2 shown]
	global_store_dwordx4 v65, v[0:3], s[6:7]
	s_or_b64 exec, exec, s[2:3]
	s_and_saveexec_b64 s[0:1], vcc
	s_cbranch_execz .LBB37_27
.LBB37_32:
	v_sub_f32_e32 v0, v36, v44
	v_mul_f32_e32 v0, s24, v0
	v_sub_f32_e32 v1, v32, v40
	v_bfe_u32 v8, v0, 16, 1
	s_movk_i32 s0, 0x7fff
	v_sub_f32_e32 v2, v37, v45
	v_mul_f32_e32 v1, s24, v1
	v_add3_u32 v8, v8, v0, s0
	v_or_b32_e32 v9, 0x400000, v0
	v_cmp_u_f32_e32 vcc, v0, v0
	v_sub_f32_e32 v3, v33, v41
	v_cndmask_b32_e32 v0, v8, v9, vcc
	v_bfe_u32 v8, v1, 16, 1
	v_mul_f32_e32 v2, s24, v2
	v_add3_u32 v8, v8, v1, s0
	v_or_b32_e32 v9, 0x400000, v1
	v_cmp_u_f32_e32 vcc, v1, v1
	v_mul_f32_e32 v1, s24, v3
	v_bfe_u32 v3, v2, 16, 1
	v_cndmask_b32_e32 v8, v8, v9, vcc
	v_add3_u32 v3, v3, v2, s0
	v_or_b32_e32 v9, 0x400000, v2
	v_cmp_u_f32_e32 vcc, v2, v2
	v_bfe_u32 v2, v1, 16, 1
	v_sub_f32_e32 v4, v38, v46
	v_cndmask_b32_e32 v9, v3, v9, vcc
	v_add3_u32 v2, v2, v1, s0
	v_or_b32_e32 v3, 0x400000, v1
	v_cmp_u_f32_e32 vcc, v1, v1
	v_sub_f32_e32 v5, v34, v42
	v_cndmask_b32_e32 v1, v2, v3, vcc
	v_mul_f32_e32 v3, s24, v4
	v_mul_f32_e32 v2, s24, v5
	v_bfe_u32 v4, v3, 16, 1
	v_add3_u32 v4, v4, v3, s0
	v_or_b32_e32 v5, 0x400000, v3
	v_cmp_u_f32_e32 vcc, v3, v3
	v_bfe_u32 v3, v2, 16, 1
	v_sub_f32_e32 v6, v39, v47
	v_cndmask_b32_e32 v4, v4, v5, vcc
	v_add3_u32 v3, v3, v2, s0
	v_or_b32_e32 v5, 0x400000, v2
	v_cmp_u_f32_e32 vcc, v2, v2
	v_cndmask_b32_e32 v2, v3, v5, vcc
	v_mul_f32_e32 v5, s24, v6
	v_sub_f32_e32 v7, v35, v43
	v_bfe_u32 v6, v5, 16, 1
	v_mul_f32_e32 v3, s24, v7
	v_add3_u32 v6, v6, v5, s0
	v_or_b32_e32 v7, 0x400000, v5
	v_cmp_u_f32_e32 vcc, v5, v5
	v_cndmask_b32_e32 v5, v6, v7, vcc
	v_bfe_u32 v6, v3, 16, 1
	v_add3_u32 v6, v6, v3, s0
	v_or_b32_e32 v7, 0x400000, v3
	v_cmp_u_f32_e32 vcc, v3, v3
	v_cndmask_b32_e32 v3, v6, v7, vcc
	s_mov_b32 s0, 0x7060302
	v_perm_b32 v3, v3, v5, s0
	v_perm_b32 v2, v2, v4, s0
	v_perm_b32 v1, v1, v9, s0
	v_perm_b32 v0, v8, v0, s0
	global_store_dwordx4 v64, v[0:3], s[6:7]
	s_endpgm
	.section	.rodata,"a",@progbits
	.p2align	6, 0x0
	.amdhsa_kernel _Z30fast_hadamard_transform_kernelI37fast_hadamard_transform_kernel_traitsILi256ELi14E14__hip_bfloat16EEv18HadamardParamsBase
		.amdhsa_group_segment_fixed_size 0
		.amdhsa_private_segment_fixed_size 0
		.amdhsa_kernarg_size 312
		.amdhsa_user_sgpr_count 6
		.amdhsa_user_sgpr_private_segment_buffer 1
		.amdhsa_user_sgpr_dispatch_ptr 0
		.amdhsa_user_sgpr_queue_ptr 0
		.amdhsa_user_sgpr_kernarg_segment_ptr 1
		.amdhsa_user_sgpr_dispatch_id 0
		.amdhsa_user_sgpr_flat_scratch_init 0
		.amdhsa_user_sgpr_private_segment_size 0
		.amdhsa_uses_dynamic_stack 0
		.amdhsa_system_sgpr_private_segment_wavefront_offset 0
		.amdhsa_system_sgpr_workgroup_id_x 1
		.amdhsa_system_sgpr_workgroup_id_y 0
		.amdhsa_system_sgpr_workgroup_id_z 0
		.amdhsa_system_sgpr_workgroup_info 0
		.amdhsa_system_vgpr_workitem_id 0
		.amdhsa_next_free_vgpr 139
		.amdhsa_next_free_sgpr 29
		.amdhsa_reserve_vcc 1
		.amdhsa_reserve_flat_scratch 0
		.amdhsa_float_round_mode_32 0
		.amdhsa_float_round_mode_16_64 0
		.amdhsa_float_denorm_mode_32 3
		.amdhsa_float_denorm_mode_16_64 3
		.amdhsa_dx10_clamp 1
		.amdhsa_ieee_mode 1
		.amdhsa_fp16_overflow 0
		.amdhsa_exception_fp_ieee_invalid_op 0
		.amdhsa_exception_fp_denorm_src 0
		.amdhsa_exception_fp_ieee_div_zero 0
		.amdhsa_exception_fp_ieee_overflow 0
		.amdhsa_exception_fp_ieee_underflow 0
		.amdhsa_exception_fp_ieee_inexact 0
		.amdhsa_exception_int_div_zero 0
	.end_amdhsa_kernel
	.section	.text._Z30fast_hadamard_transform_kernelI37fast_hadamard_transform_kernel_traitsILi256ELi14E14__hip_bfloat16EEv18HadamardParamsBase,"axG",@progbits,_Z30fast_hadamard_transform_kernelI37fast_hadamard_transform_kernel_traitsILi256ELi14E14__hip_bfloat16EEv18HadamardParamsBase,comdat
.Lfunc_end37:
	.size	_Z30fast_hadamard_transform_kernelI37fast_hadamard_transform_kernel_traitsILi256ELi14E14__hip_bfloat16EEv18HadamardParamsBase, .Lfunc_end37-_Z30fast_hadamard_transform_kernelI37fast_hadamard_transform_kernel_traitsILi256ELi14E14__hip_bfloat16EEv18HadamardParamsBase
                                        ; -- End function
	.set _Z30fast_hadamard_transform_kernelI37fast_hadamard_transform_kernel_traitsILi256ELi14E14__hip_bfloat16EEv18HadamardParamsBase.num_vgpr, 139
	.set _Z30fast_hadamard_transform_kernelI37fast_hadamard_transform_kernel_traitsILi256ELi14E14__hip_bfloat16EEv18HadamardParamsBase.num_agpr, 0
	.set _Z30fast_hadamard_transform_kernelI37fast_hadamard_transform_kernel_traitsILi256ELi14E14__hip_bfloat16EEv18HadamardParamsBase.numbered_sgpr, 29
	.set _Z30fast_hadamard_transform_kernelI37fast_hadamard_transform_kernel_traitsILi256ELi14E14__hip_bfloat16EEv18HadamardParamsBase.num_named_barrier, 0
	.set _Z30fast_hadamard_transform_kernelI37fast_hadamard_transform_kernel_traitsILi256ELi14E14__hip_bfloat16EEv18HadamardParamsBase.private_seg_size, 0
	.set _Z30fast_hadamard_transform_kernelI37fast_hadamard_transform_kernel_traitsILi256ELi14E14__hip_bfloat16EEv18HadamardParamsBase.uses_vcc, 1
	.set _Z30fast_hadamard_transform_kernelI37fast_hadamard_transform_kernel_traitsILi256ELi14E14__hip_bfloat16EEv18HadamardParamsBase.uses_flat_scratch, 0
	.set _Z30fast_hadamard_transform_kernelI37fast_hadamard_transform_kernel_traitsILi256ELi14E14__hip_bfloat16EEv18HadamardParamsBase.has_dyn_sized_stack, 0
	.set _Z30fast_hadamard_transform_kernelI37fast_hadamard_transform_kernel_traitsILi256ELi14E14__hip_bfloat16EEv18HadamardParamsBase.has_recursion, 0
	.set _Z30fast_hadamard_transform_kernelI37fast_hadamard_transform_kernel_traitsILi256ELi14E14__hip_bfloat16EEv18HadamardParamsBase.has_indirect_call, 0
	.section	.AMDGPU.csdata,"",@progbits
; Kernel info:
; codeLenInByte = 19088
; TotalNumSgprs: 33
; NumVgprs: 139
; ScratchSize: 0
; MemoryBound: 0
; FloatMode: 240
; IeeeMode: 1
; LDSByteSize: 0 bytes/workgroup (compile time only)
; SGPRBlocks: 4
; VGPRBlocks: 34
; NumSGPRsForWavesPerEU: 33
; NumVGPRsForWavesPerEU: 139
; Occupancy: 1
; WaveLimiterHint : 0
; COMPUTE_PGM_RSRC2:SCRATCH_EN: 0
; COMPUTE_PGM_RSRC2:USER_SGPR: 6
; COMPUTE_PGM_RSRC2:TRAP_HANDLER: 0
; COMPUTE_PGM_RSRC2:TGID_X_EN: 1
; COMPUTE_PGM_RSRC2:TGID_Y_EN: 0
; COMPUTE_PGM_RSRC2:TGID_Z_EN: 0
; COMPUTE_PGM_RSRC2:TIDIG_COMP_CNT: 0
	.section	.text._Z30fast_hadamard_transform_kernelI37fast_hadamard_transform_kernel_traitsILi256ELi15E14__hip_bfloat16EEv18HadamardParamsBase,"axG",@progbits,_Z30fast_hadamard_transform_kernelI37fast_hadamard_transform_kernel_traitsILi256ELi15E14__hip_bfloat16EEv18HadamardParamsBase,comdat
	.protected	_Z30fast_hadamard_transform_kernelI37fast_hadamard_transform_kernel_traitsILi256ELi15E14__hip_bfloat16EEv18HadamardParamsBase ; -- Begin function _Z30fast_hadamard_transform_kernelI37fast_hadamard_transform_kernel_traitsILi256ELi15E14__hip_bfloat16EEv18HadamardParamsBase
	.globl	_Z30fast_hadamard_transform_kernelI37fast_hadamard_transform_kernel_traitsILi256ELi15E14__hip_bfloat16EEv18HadamardParamsBase
	.p2align	8
	.type	_Z30fast_hadamard_transform_kernelI37fast_hadamard_transform_kernel_traitsILi256ELi15E14__hip_bfloat16EEv18HadamardParamsBase,@function
_Z30fast_hadamard_transform_kernelI37fast_hadamard_transform_kernel_traitsILi256ELi15E14__hip_bfloat16EEv18HadamardParamsBase: ; @_Z30fast_hadamard_transform_kernelI37fast_hadamard_transform_kernel_traitsILi256ELi15E14__hip_bfloat16EEv18HadamardParamsBase
; %bb.0:
	s_mov_b64 s[50:51], s[2:3]
	s_mov_b64 s[48:49], s[0:1]
	s_load_dwordx4 s[44:47], s[4:5], 0x10
	s_load_dword s33, s[4:5], 0x4
	s_load_dwordx4 s[40:43], s[4:5], 0x28
	s_add_u32 s48, s48, s7
	s_addc_u32 s49, s49, 0
	s_ashr_i32 s7, s6, 31
	s_waitcnt lgkmcnt(0)
	s_mul_hi_u32 s0, s44, s6
	s_mul_i32 s1, s44, s7
	s_add_i32 s0, s0, s1
	s_mul_i32 s1, s45, s6
	s_load_dword s2, s[4:5], 0x44
	s_add_i32 s1, s0, s1
	s_mul_i32 s0, s44, s6
	s_lshl_b64 s[0:1], s[0:1], 1
	s_add_u32 s30, s40, s0
	v_lshlrev_b32_e32 v1, 3, v0
	s_addc_u32 s31, s41, s1
	v_cmp_gt_u32_e64 s[28:29], s33, v1
	v_mov_b32_e32 v1, 0
	v_lshlrev_b32_e32 v146, 4, v0
	v_mov_b32_e32 v2, 0
	v_mov_b32_e32 v3, 0
	;; [unrolled: 1-line block ×8, first 2 shown]
	s_and_saveexec_b64 s[0:1], s[28:29]
	s_cbranch_execz .LBB38_2
; %bb.1:
	global_load_dwordx4 v[8:11], v146, s[30:31]
	s_waitcnt vmcnt(0)
	v_lshlrev_b32_e32 v15, 16, v8
	v_and_b32_e32 v14, 0xffff0000, v8
	v_lshlrev_b32_e32 v8, 16, v9
	v_and_b32_e32 v7, 0xffff0000, v9
	;; [unrolled: 2-line block ×4, first 2 shown]
.LBB38_2:
	s_or_b64 exec, exec, s[0:1]
	s_waitcnt lgkmcnt(0)
	s_and_b32 s40, 0xffff, s2
	v_add_u32_e32 v11, s40, v0
	v_lshlrev_b32_e32 v6, 3, v11
	v_cmp_gt_u32_e64 s[26:27], s33, v6
	v_lshlrev_b32_e32 v6, 4, v11
	buffer_store_dword v6, off, s[48:51], 0 offset:68 ; 4-byte Folded Spill
	v_mov_b32_e32 v6, 0
	v_mov_b32_e32 v9, 0
	v_mov_b32_e32 v10, 0
	v_mov_b32_e32 v16, 0
	v_mov_b32_e32 v17, 0
	v_mov_b32_e32 v21, 0
	v_mov_b32_e32 v22, 0
	s_and_saveexec_b64 s[0:1], s[26:27]
	s_cbranch_execz .LBB38_4
; %bb.3:
	v_lshlrev_b32_e32 v1, 4, v11
	global_load_dwordx4 v[17:20], v1, s[30:31]
	s_waitcnt vmcnt(0)
	v_lshlrev_b32_e32 v22, 16, v17
	v_and_b32_e32 v21, 0xffff0000, v17
	v_lshlrev_b32_e32 v17, 16, v18
	v_and_b32_e32 v16, 0xffff0000, v18
	v_lshlrev_b32_e32 v10, 16, v19
	v_and_b32_e32 v9, 0xffff0000, v19
	v_lshlrev_b32_e32 v6, 16, v20
	v_and_b32_e32 v1, 0xffff0000, v20
.LBB38_4:
	s_or_b64 exec, exec, s[0:1]
	v_add_u32_e32 v20, s40, v11
	v_lshlrev_b32_e32 v11, 3, v20
	v_lshlrev_b32_e32 v12, 4, v20
	v_cmp_gt_u32_e64 s[24:25], s33, v11
	v_mov_b32_e32 v11, 0
	buffer_store_dword v12, off, s[48:51], 0 offset:64 ; 4-byte Folded Spill
	v_mov_b32_e32 v12, 0
	v_mov_b32_e32 v13, 0
	v_mov_b32_e32 v18, 0
	v_mov_b32_e32 v19, 0
	v_mov_b32_e32 v23, 0
	v_mov_b32_e32 v24, 0
	v_mov_b32_e32 v30, 0
	v_mov_b32_e32 v31, 0
	s_and_saveexec_b64 s[0:1], s[24:25]
	s_cbranch_execz .LBB38_6
; %bb.5:
	v_lshlrev_b32_e32 v12, 4, v20
	global_load_dwordx4 v[24:27], v12, s[30:31]
	s_waitcnt vmcnt(0)
	v_lshlrev_b32_e32 v31, 16, v24
	v_and_b32_e32 v30, 0xffff0000, v24
	v_lshlrev_b32_e32 v24, 16, v25
	v_and_b32_e32 v23, 0xffff0000, v25
	v_lshlrev_b32_e32 v19, 16, v26
	v_and_b32_e32 v18, 0xffff0000, v26
	v_lshlrev_b32_e32 v13, 16, v27
	v_and_b32_e32 v12, 0xffff0000, v27
.LBB38_6:
	s_or_b64 exec, exec, s[0:1]
	v_add_u32_e32 v27, s40, v20
	v_lshlrev_b32_e32 v20, 3, v27
	v_cmp_gt_u32_e64 s[22:23], s33, v20
	v_lshlrev_b32_e32 v20, 4, v27
	buffer_store_dword v20, off, s[48:51], 0 offset:60 ; 4-byte Folded Spill
	v_mov_b32_e32 v20, 0
	v_mov_b32_e32 v25, 0
	v_mov_b32_e32 v26, 0
	v_mov_b32_e32 v32, 0
	v_mov_b32_e32 v33, 0
	v_mov_b32_e32 v37, 0
	v_mov_b32_e32 v38, 0
	s_and_saveexec_b64 s[0:1], s[22:23]
	s_cbranch_execz .LBB38_8
; %bb.7:
	v_lshlrev_b32_e32 v11, 4, v27
	global_load_dwordx4 v[33:36], v11, s[30:31]
	s_waitcnt vmcnt(0)
	v_lshlrev_b32_e32 v38, 16, v33
	v_and_b32_e32 v37, 0xffff0000, v33
	v_lshlrev_b32_e32 v33, 16, v34
	v_and_b32_e32 v32, 0xffff0000, v34
	v_lshlrev_b32_e32 v26, 16, v35
	v_and_b32_e32 v25, 0xffff0000, v35
	v_lshlrev_b32_e32 v20, 16, v36
	v_and_b32_e32 v11, 0xffff0000, v36
.LBB38_8:
	s_or_b64 exec, exec, s[0:1]
	v_add_u32_e32 v36, s40, v27
	v_lshlrev_b32_e32 v27, 3, v36
	v_lshlrev_b32_e32 v28, 4, v36
	v_cmp_gt_u32_e64 s[20:21], s33, v27
	v_mov_b32_e32 v27, 0
	buffer_store_dword v28, off, s[48:51], 0 offset:56 ; 4-byte Folded Spill
	v_mov_b32_e32 v28, 0
	v_mov_b32_e32 v29, 0
	v_mov_b32_e32 v34, 0
	v_mov_b32_e32 v35, 0
	v_mov_b32_e32 v39, 0
	v_mov_b32_e32 v40, 0
	v_mov_b32_e32 v46, 0
	v_mov_b32_e32 v47, 0
	s_and_saveexec_b64 s[0:1], s[20:21]
	s_cbranch_execz .LBB38_10
; %bb.9:
	v_lshlrev_b32_e32 v28, 4, v36
	global_load_dwordx4 v[40:43], v28, s[30:31]
	s_waitcnt vmcnt(0)
	v_lshlrev_b32_e32 v47, 16, v40
	v_and_b32_e32 v46, 0xffff0000, v40
	v_lshlrev_b32_e32 v40, 16, v41
	v_and_b32_e32 v39, 0xffff0000, v41
	v_lshlrev_b32_e32 v35, 16, v42
	v_and_b32_e32 v34, 0xffff0000, v42
	v_lshlrev_b32_e32 v29, 16, v43
	v_and_b32_e32 v28, 0xffff0000, v43
.LBB38_10:
	s_or_b64 exec, exec, s[0:1]
	;; [unrolled: 58-line block ×5, first 2 shown]
	v_add_u32_e32 v91, s40, v84
	v_lshlrev_b32_e32 v84, 3, v91
	v_cmp_gt_u32_e64 s[38:39], s33, v84
	v_lshlrev_b32_e32 v84, 4, v91
	buffer_store_dword v84, off, s[48:51], 0 offset:28 ; 4-byte Folded Spill
	v_mov_b32_e32 v84, 0
	v_mov_b32_e32 v89, 0
	;; [unrolled: 1-line block ×7, first 2 shown]
	s_and_saveexec_b64 s[0:1], s[38:39]
	s_cbranch_execz .LBB38_24
; %bb.23:
	v_lshlrev_b32_e32 v75, 4, v91
	global_load_dwordx4 v[102:105], v75, s[30:31]
	s_waitcnt vmcnt(0)
	v_lshlrev_b32_e32 v101, 16, v102
	v_and_b32_e32 v100, 0xffff0000, v102
	v_lshlrev_b32_e32 v97, 16, v103
	v_and_b32_e32 v96, 0xffff0000, v103
	;; [unrolled: 2-line block ×4, first 2 shown]
.LBB38_24:
	s_or_b64 exec, exec, s[0:1]
	v_add_u32_e32 v102, s40, v91
	v_lshlrev_b32_e32 v91, 3, v102
	v_cmp_gt_u32_e64 s[36:37], s33, v91
	v_lshlrev_b32_e32 v91, 4, v102
	v_mov_b32_e32 v93, 0
	buffer_store_dword v91, off, s[48:51], 0 offset:24 ; 4-byte Folded Spill
	v_mov_b32_e32 v91, 0
	v_mov_b32_e32 v92, 0
	;; [unrolled: 1-line block ×8, first 2 shown]
	s_and_saveexec_b64 s[0:1], s[36:37]
	s_cbranch_execz .LBB38_26
; %bb.25:
	v_lshlrev_b32_e32 v91, 4, v102
	global_load_dwordx4 v[109:112], v91, s[30:31]
	s_waitcnt vmcnt(0)
	v_lshlrev_b32_e32 v108, 16, v109
	v_and_b32_e32 v107, 0xffff0000, v109
	v_lshlrev_b32_e32 v104, 16, v110
	v_and_b32_e32 v103, 0xffff0000, v110
	;; [unrolled: 2-line block ×4, first 2 shown]
.LBB38_26:
	s_or_b64 exec, exec, s[0:1]
	v_add_u32_e32 v109, s40, v102
	v_lshlrev_b32_e32 v102, 3, v109
	v_cmp_gt_u32_e64 s[2:3], s33, v102
	v_mov_b32_e32 v102, 0
	v_mov_b32_e32 v105, 0
	;; [unrolled: 1-line block ×7, first 2 shown]
	s_and_saveexec_b64 s[0:1], s[2:3]
	s_cbranch_execz .LBB38_28
; %bb.27:
	v_mov_b32_e32 v110, 0
	v_lshlrev_b64 v[105:106], 4, v[109:110]
	v_mov_b32_e32 v93, s31
	v_add_co_u32_e32 v105, vcc, s30, v105
	v_addc_co_u32_e32 v106, vcc, v93, v106, vcc
	global_load_dwordx4 v[118:121], v[105:106], off
	s_waitcnt vmcnt(0)
	v_lshlrev_b32_e32 v117, 16, v118
	v_and_b32_e32 v116, 0xffff0000, v118
	v_lshlrev_b32_e32 v113, 16, v119
	v_and_b32_e32 v112, 0xffff0000, v119
	;; [unrolled: 2-line block ×4, first 2 shown]
.LBB38_28:
	s_or_b64 exec, exec, s[0:1]
	v_mov_b32_e32 v110, v109
	v_add_u32_e32 v118, s40, v109
	buffer_store_dword v110, off, s[48:51], 0 offset:16 ; 4-byte Folded Spill
	s_nop 0
	buffer_store_dword v111, off, s[48:51], 0 offset:20 ; 4-byte Folded Spill
	v_lshlrev_b32_e32 v109, 3, v118
	v_cmp_gt_u32_e64 s[0:1], s33, v109
	v_mov_b32_e32 v109, 0
	v_mov_b32_e32 v110, 0
	;; [unrolled: 1-line block ×9, first 2 shown]
	s_and_saveexec_b64 s[34:35], s[0:1]
	s_cbranch_execz .LBB38_30
; %bb.29:
	v_mov_b32_e32 v119, 0
	v_lshlrev_b64 v[110:111], 4, v[118:119]
	v_mov_b32_e32 v114, s31
	v_add_co_u32_e32 v110, vcc, s30, v110
	v_addc_co_u32_e32 v111, vcc, v114, v111, vcc
	global_load_dwordx4 v[125:128], v[110:111], off
	s_waitcnt vmcnt(0)
	v_lshlrev_b32_e32 v124, 16, v125
	v_and_b32_e32 v123, 0xffff0000, v125
	v_lshlrev_b32_e32 v120, 16, v126
	v_and_b32_e32 v119, 0xffff0000, v126
	;; [unrolled: 2-line block ×4, first 2 shown]
.LBB38_30:
	s_or_b64 exec, exec, s[34:35]
	v_mov_b32_e32 v121, v118
	buffer_store_dword v121, off, s[48:51], 0 offset:8 ; 4-byte Folded Spill
	s_nop 0
	buffer_store_dword v122, off, s[48:51], 0 offset:12 ; 4-byte Folded Spill
	v_add_u32_e32 v121, s40, v118
	v_mov_b32_e32 v118, v121
	buffer_store_dword v118, off, s[48:51], 0 ; 4-byte Folded Spill
	s_nop 0
	buffer_store_dword v119, off, s[48:51], 0 offset:4 ; 4-byte Folded Spill
	v_lshlrev_b32_e32 v118, 3, v121
	v_cmp_gt_u32_e32 vcc, s33, v118
	v_mov_b32_e32 v118, 0
	v_mov_b32_e32 v121, 0
	;; [unrolled: 1-line block ×7, first 2 shown]
	s_and_saveexec_b64 s[34:35], vcc
	s_cbranch_execz .LBB38_32
; %bb.31:
	buffer_load_dword v121, off, s[48:51], 0 ; 4-byte Folded Reload
	buffer_load_dword v122, off, s[48:51], 0 offset:4 ; 4-byte Folded Reload
	s_waitcnt vmcnt(0)
	v_mov_b32_e32 v122, 0
	v_mov_b32_e32 v109, v121
	v_lshlrev_b64 v[121:122], 4, v[121:122]
	buffer_store_dword v109, off, s[48:51], 0 ; 4-byte Folded Spill
	s_nop 0
	buffer_store_dword v110, off, s[48:51], 0 offset:4 ; 4-byte Folded Spill
	v_mov_b32_e32 v109, s31
	v_add_co_u32_e64 v121, s[30:31], s30, v121
	v_addc_co_u32_e64 v122, s[30:31], v109, v122, s[30:31]
	global_load_dwordx4 v[129:132], v[121:122], off
	s_waitcnt vmcnt(0)
	v_lshlrev_b32_e32 v128, 16, v129
	v_and_b32_e32 v127, 0xffff0000, v129
	v_lshlrev_b32_e32 v126, 16, v130
	v_and_b32_e32 v125, 0xffff0000, v130
	;; [unrolled: 2-line block ×4, first 2 shown]
.LBB38_32:
	s_or_b64 exec, exec, s[34:35]
	v_add_f32_e32 v129, v15, v14
	v_sub_f32_e32 v14, v15, v14
	v_add_f32_e32 v15, v22, v21
	v_sub_f32_e32 v21, v22, v21
	;; [unrolled: 2-line block ×78, first 2 shown]
	v_add_f32_e32 v108, v113, v117
	v_add_f32_e32 v133, v120, v124
	v_sub_f32_e32 v120, v124, v120
	v_add_f32_e32 v124, v14, v7
	v_sub_f32_e32 v14, v14, v7
	;; [unrolled: 2-line block ×43, first 2 shown]
	v_sub_f32_e32 v59, v73, v59
	v_add_f32_e32 v73, v82, v76
	v_sub_f32_e32 v76, v82, v76
	v_add_f32_e32 v82, v89, v75
	;; [unrolled: 2-line block ×18, first 2 shown]
	v_sub_f32_e32 v33, v16, v1
	v_mbcnt_lo_u32_b32 v1, -1, 0
	v_mbcnt_hi_u32_b32 v1, -1, v1
	v_add_f32_e32 v141, v97, v118
	v_sub_f32_e32 v142, v118, v97
	v_add_f32_e32 v143, v101, v129
	v_sub_f32_e32 v144, v129, v101
	;; [unrolled: 2-line block ×6, first 2 shown]
	v_and_b32_e32 v2, 64, v1
	v_add_u32_e32 v2, 64, v2
	v_xor_b32_e32 v15, 1, v1
	s_load_dword s33, s[4:5], 0x20
	v_cmp_lt_i32_e64 s[4:5], v15, v2
	v_cndmask_b32_e64 v15, v1, v15, s[4:5]
	v_add_f32_e32 v137, v114, v110
	v_sub_f32_e32 v138, v114, v110
	v_add_f32_e32 v154, v10, v38
	v_sub_f32_e32 v155, v38, v10
	v_add_f32_e32 v158, v35, v54
	v_sub_f32_e32 v159, v54, v35
	v_add_f32_e32 v35, v106, v7
	v_sub_f32_e32 v38, v7, v106
	v_add_f32_e32 v106, v82, v94
	v_sub_f32_e32 v110, v94, v82
	v_add_f32_e32 v114, v89, v100
	v_sub_f32_e32 v118, v100, v89
	v_add_f32_e32 v89, v65, v45
	v_sub_f32_e32 v94, v65, v45
	v_lshlrev_b32_e32 v45, 2, v15
	v_add_f32_e32 v150, v5, v22
	v_sub_f32_e32 v151, v22, v5
	v_add_f32_e32 v22, v102, v124
	ds_bpermute_b32 v15, v45, v141
	v_add_f32_e32 v162, v51, v70
	v_sub_f32_e32 v163, v70, v51
	v_add_f32_e32 v67, v34, v46
	v_sub_f32_e32 v70, v46, v34
	;; [unrolled: 2-line block ×3, first 2 shown]
	ds_bpermute_b32 v17, v45, v22
	v_and_b32_e32 v16, 1, v0
	v_add_f32_e32 v156, v13, v47
	v_sub_f32_e32 v157, v47, v13
	v_add_f32_e32 v160, v42, v63
	v_sub_f32_e32 v161, v63, v42
	;; [unrolled: 2-line block ×3, first 2 shown]
	v_add_f32_e32 v21, v128, v123
	v_cmp_eq_u32_e64 s[30:31], 0, v16
	v_sub_f32_e32 v31, v124, v102
	v_add_f32_e32 v133, v73, v85
	v_sub_f32_e32 v102, v85, v73
	v_add_f32_e32 v82, v56, v36
	;; [unrolled: 2-line block ×3, first 2 shown]
	v_sub_f32_e32 v40, v23, v18
	v_cndmask_b32_e64 v16, -v141, v141, s[30:31]
	ds_bpermute_b32 v18, v45, v21
	s_waitcnt lgkmcnt(0)
	v_add_f32_e32 v15, v16, v15
	v_cndmask_b32_e64 v16, -v22, v22, s[30:31]
	ds_bpermute_b32 v20, v45, v19
	v_add_f32_e32 v16, v16, v17
	v_cndmask_b32_e64 v17, -v21, v21, s[30:31]
	ds_bpermute_b32 v21, v45, v142
	v_add_f32_e32 v17, v17, v18
	v_cndmask_b32_e64 v18, -v19, v19, s[30:31]
	v_add_f32_e32 v51, v115, v30
	v_sub_f32_e32 v54, v30, v115
	v_sub_f32_e32 v30, v128, v123
	s_waitcnt lgkmcnt(1)
	v_add_f32_e32 v18, v18, v20
	ds_bpermute_b32 v20, v45, v31
	v_cndmask_b32_e64 v19, -v142, v142, s[30:31]
	s_waitcnt lgkmcnt(1)
	v_add_f32_e32 v19, v19, v21
	ds_bpermute_b32 v21, v45, v30
	v_cndmask_b32_e64 v22, -v31, v31, s[30:31]
	;; [unrolled: 4-line block ×4, first 2 shown]
	v_add_f32_e32 v122, v98, v107
	v_sub_f32_e32 v125, v107, v98
	v_add_f32_e32 v34, v8, v126
	v_add_f32_e32 v73, v49, v29
	v_sub_f32_e32 v78, v49, v29
	v_add_f32_e32 v98, v72, v52
	v_sub_f32_e32 v100, v72, v52
	;; [unrolled: 2-line block ×3, first 2 shown]
	s_waitcnt lgkmcnt(1)
	v_add_f32_e32 v22, v24, v22
	ds_bpermute_b32 v24, v45, v35
	v_cndmask_b32_e64 v25, -v143, v143, s[30:31]
	s_waitcnt lgkmcnt(1)
	v_add_f32_e32 v23, v25, v23
	ds_bpermute_b32 v25, v45, v34
	v_add_f32_e32 v13, v137, v116
	v_sub_f32_e32 v10, v116, v137
	v_add_f32_e32 v137, v88, v68
	v_sub_f32_e32 v111, v88, v68
	;; [unrolled: 2-line block ×3, first 2 shown]
	v_cndmask_b32_e64 v27, -v35, v35, s[30:31]
	v_add_f32_e32 v107, v81, v61
	v_sub_f32_e32 v128, v81, v61
	v_add_f32_e32 v61, v39, v28
	v_sub_f32_e32 v65, v39, v28
	s_waitcnt lgkmcnt(1)
	v_add_f32_e32 v24, v27, v24
	ds_bpermute_b32 v27, v45, v26
	v_cndmask_b32_e64 v28, -v34, v34, s[30:31]
	s_waitcnt lgkmcnt(1)
	v_add_f32_e32 v25, v28, v25
	ds_bpermute_b32 v28, v45, v144
	v_add_f32_e32 v58, v11, v37
	v_sub_f32_e32 v63, v37, v11
	v_sub_f32_e32 v37, v8, v126
	ds_bpermute_b32 v29, v45, v38
	ds_bpermute_b32 v30, v45, v37
	v_cndmask_b32_e64 v26, -v26, v26, s[30:31]
	s_waitcnt lgkmcnt(3)
	v_add_f32_e32 v26, v26, v27
	v_cndmask_b32_e64 v27, -v144, v144, s[30:31]
	s_waitcnt lgkmcnt(2)
	v_add_f32_e32 v27, v27, v28
	v_cndmask_b32_e64 v28, -v38, v38, s[30:31]
	ds_bpermute_b32 v31, v45, v33
	s_waitcnt lgkmcnt(2)
	v_add_f32_e32 v28, v28, v29
	v_cndmask_b32_e64 v29, -v37, v37, s[30:31]
	ds_bpermute_b32 v32, v45, v145
	;; [unrolled: 4-line block ×3, first 2 shown]
	ds_bpermute_b32 v34, v45, v41
	s_waitcnt lgkmcnt(3)
	v_add_f32_e32 v30, v30, v31
	v_cndmask_b32_e64 v31, -v145, v145, s[30:31]
	s_waitcnt lgkmcnt(2)
	v_add_f32_e32 v31, v31, v32
	v_cndmask_b32_e64 v32, -v42, v42, s[30:31]
	ds_bpermute_b32 v35, v45, v36
	s_waitcnt lgkmcnt(2)
	v_add_f32_e32 v32, v32, v33
	v_cndmask_b32_e64 v33, -v41, v41, s[30:31]
	ds_bpermute_b32 v37, v45, v149
	;; [unrolled: 4-line block ×3, first 2 shown]
	s_waitcnt lgkmcnt(2)
	v_add_f32_e32 v34, v34, v35
	v_cndmask_b32_e64 v35, -v149, v149, s[30:31]
	s_waitcnt lgkmcnt(1)
	v_add_f32_e32 v35, v35, v37
	ds_bpermute_b32 v37, v45, v46
	v_cndmask_b32_e64 v38, -v47, v47, s[30:31]
	s_waitcnt lgkmcnt(1)
	v_add_f32_e32 v36, v38, v36
	ds_bpermute_b32 v38, v45, v40
	;; [unrolled: 4-line block ×6, first 2 shown]
	v_add_f32_e32 v123, v104, v84
	v_sub_f32_e32 v126, v104, v84
	v_add_f32_e32 v84, v64, v43
	v_sub_f32_e32 v88, v64, v43
	v_cndmask_b32_e64 v43, -v50, v50, s[30:31]
	v_add_f32_e32 v7, v139, v119
	v_sub_f32_e32 v5, v119, v139
	v_add_f32_e32 v115, v130, v77
	v_sub_f32_e32 v119, v130, v77
	;; [unrolled: 2-line block ×3, first 2 shown]
	s_waitcnt lgkmcnt(1)
	v_add_f32_e32 v41, v43, v41
	ds_bpermute_b32 v43, v45, v151
	v_cndmask_b32_e64 v44, -v49, v49, s[30:31]
	s_waitcnt lgkmcnt(1)
	v_add_f32_e32 v42, v44, v42
	ds_bpermute_b32 v44, v45, v54
	v_cndmask_b32_e64 v46, -v151, v151, s[30:31]
	;; [unrolled: 4-line block ×13, first 2 shown]
	s_waitcnt lgkmcnt(1)
	v_add_f32_e32 v55, v58, v55
	ds_bpermute_b32 v58, v45, v67
	v_add_f32_e32 v129, v132, v92
	v_sub_f32_e32 v56, v132, v92
	v_add_f32_e32 v130, v80, v59
	v_sub_f32_e32 v132, v80, v59
	v_cndmask_b32_e64 v59, -v154, v154, s[30:31]
	v_add_f32_e32 v92, v71, v60
	v_sub_f32_e32 v104, v71, v60
	s_waitcnt lgkmcnt(1)
	v_add_f32_e32 v57, v59, v57
	ds_bpermute_b32 v59, v45, v66
	v_cndmask_b32_e64 v60, -v67, v67, s[30:31]
	s_waitcnt lgkmcnt(1)
	v_add_f32_e32 v58, v60, v58
	ds_bpermute_b32 v60, v45, v68
	v_cndmask_b32_e64 v61, -v66, v66, s[30:31]
	;; [unrolled: 4-line block ×15, first 2 shown]
	s_waitcnt lgkmcnt(1)
	v_add_f32_e32 v72, v74, v72
	ds_bpermute_b32 v74, v45, v83
	v_add_f32_e32 v164, v96, v75
	v_sub_f32_e32 v165, v96, v75
	v_cndmask_b32_e64 v75, -v158, v158, s[30:31]
	v_add_f32_e32 v11, v120, v136
	v_sub_f32_e32 v8, v120, v136
	v_add_f32_e32 v136, v87, v76
	v_sub_f32_e32 v139, v87, v76
	s_waitcnt lgkmcnt(1)
	v_add_f32_e32 v73, v75, v73
	ds_bpermute_b32 v75, v45, v82
	v_cndmask_b32_e64 v76, -v83, v83, s[30:31]
	s_waitcnt lgkmcnt(1)
	v_add_f32_e32 v74, v76, v74
	ds_bpermute_b32 v76, v45, v84
	v_cndmask_b32_e64 v77, -v82, v82, s[30:31]
	;; [unrolled: 4-line block ×15, first 2 shown]
	s_waitcnt lgkmcnt(1)
	v_add_f32_e32 v88, v90, v88
	ds_bpermute_b32 v90, v45, v99
	v_add_f32_e32 v116, v103, v91
	v_sub_f32_e32 v120, v103, v91
	v_cndmask_b32_e64 v91, -v162, v162, s[30:31]
	s_waitcnt lgkmcnt(1)
	v_add_f32_e32 v89, v91, v89
	ds_bpermute_b32 v91, v45, v98
	v_cndmask_b32_e64 v92, -v99, v99, s[30:31]
	s_waitcnt lgkmcnt(1)
	v_add_f32_e32 v90, v92, v90
	ds_bpermute_b32 v92, v45, v130
	v_add_f32_e32 v124, v112, v93
	v_sub_f32_e32 v127, v112, v93
	v_cndmask_b32_e64 v93, -v98, v98, s[30:31]
	s_waitcnt lgkmcnt(1)
	v_add_f32_e32 v91, v93, v91
	ds_bpermute_b32 v93, v45, v163
	v_cndmask_b32_e64 v94, -v130, v130, s[30:31]
	s_waitcnt lgkmcnt(1)
	v_add_f32_e32 v92, v94, v92
	ds_bpermute_b32 v94, v45, v108
	;; [unrolled: 4-line block ×6, first 2 shown]
	ds_bpermute_b32 v100, v45, v107
	ds_bpermute_b32 v103, v45, v136
	v_cndmask_b32_e64 v97, -v97, v97, s[30:31]
	ds_bpermute_b32 v104, v45, v101
	s_waitcnt lgkmcnt(4)
	v_add_f32_e32 v97, v97, v98
	v_cndmask_b32_e64 v98, -v133, v133, s[30:31]
	s_waitcnt lgkmcnt(3)
	v_add_f32_e32 v98, v98, v99
	v_cndmask_b32_e64 v99, -v107, v107, s[30:31]
	s_waitcnt lgkmcnt(2)
	v_add_f32_e32 v99, v99, v100
	v_cndmask_b32_e64 v100, -v136, v136, s[30:31]
	s_waitcnt lgkmcnt(1)
	v_add_f32_e32 v100, v100, v103
	ds_bpermute_b32 v103, v45, v102
	v_cndmask_b32_e64 v101, -v101, v101, s[30:31]
	s_waitcnt lgkmcnt(1)
	v_add_f32_e32 v101, v101, v104
	ds_bpermute_b32 v104, v45, v128
	ds_bpermute_b32 v107, v45, v139
	ds_bpermute_b32 v108, v45, v105
	v_cndmask_b32_e64 v102, -v102, v102, s[30:31]
	s_waitcnt lgkmcnt(3)
	v_add_f32_e32 v102, v102, v103
	v_cndmask_b32_e64 v103, -v128, v128, s[30:31]
	s_waitcnt lgkmcnt(2)
	v_add_f32_e32 v103, v103, v104
	;; [unrolled: 3-line block ×3, first 2 shown]
	ds_bpermute_b32 v107, v45, v106
	v_cndmask_b32_e64 v105, -v105, v105, s[30:31]
	s_waitcnt lgkmcnt(1)
	v_add_f32_e32 v105, v105, v108
	ds_bpermute_b32 v108, v45, v137
	ds_bpermute_b32 v112, v45, v164
	v_cndmask_b32_e64 v106, -v106, v106, s[30:31]
	ds_bpermute_b32 v128, v45, v109
	s_waitcnt lgkmcnt(3)
	v_add_f32_e32 v106, v106, v107
	v_cndmask_b32_e64 v107, -v137, v137, s[30:31]
	s_waitcnt lgkmcnt(2)
	v_add_f32_e32 v107, v107, v108
	v_cndmask_b32_e64 v108, -v164, v164, s[30:31]
	s_waitcnt lgkmcnt(1)
	v_add_f32_e32 v108, v108, v112
	ds_bpermute_b32 v112, v45, v110
	v_cndmask_b32_e64 v109, -v109, v109, s[30:31]
	s_waitcnt lgkmcnt(1)
	v_add_f32_e32 v109, v109, v128
	ds_bpermute_b32 v128, v45, v111
	;; [unrolled: 4-line block ×22, first 2 shown]
	v_add_f32_e32 v131, v134, v138
	v_cndmask_b32_e64 v13, -v13, v13, s[30:31]
	s_waitcnt lgkmcnt(1)
	v_add_f32_e32 v13, v13, v130
	ds_bpermute_b32 v130, v45, v131
	v_cndmask_b32_e64 v129, -v129, v129, s[30:31]
	s_waitcnt lgkmcnt(1)
	v_add_f32_e32 v129, v129, v128
	ds_bpermute_b32 v128, v45, v6
	;; [unrolled: 4-line block ×4, first 2 shown]
	v_sub_f32_e32 v147, v134, v138
	v_cndmask_b32_e64 v10, -v10, v10, s[30:31]
	s_waitcnt lgkmcnt(1)
	v_add_f32_e32 v10, v10, v130
	ds_bpermute_b32 v130, v45, v147
	v_cndmask_b32_e64 v56, -v56, v56, s[30:31]
	s_waitcnt lgkmcnt(1)
	v_add_f32_e32 v133, v56, v128
	ds_bpermute_b32 v56, v45, v4
	;; [unrolled: 4-line block ×4, first 2 shown]
	v_add_f32_e32 v148, v135, v140
	v_cndmask_b32_e64 v7, -v7, v7, s[30:31]
	s_waitcnt lgkmcnt(1)
	v_add_f32_e32 v7, v7, v128
	ds_bpermute_b32 v128, v45, v148
	v_cndmask_b32_e64 v11, -v11, v11, s[30:31]
	s_waitcnt lgkmcnt(1)
	v_add_f32_e32 v11, v11, v56
	ds_bpermute_b32 v56, v45, v3
	;; [unrolled: 4-line block ×3, first 2 shown]
	v_cndmask_b32_e64 v3, -v3, v3, s[30:31]
	v_sub_f32_e32 v14, v135, v140
	s_waitcnt lgkmcnt(1)
	v_add_f32_e32 v149, v3, v56
	ds_bpermute_b32 v3, v45, v8
	ds_bpermute_b32 v56, v45, v14
	v_cndmask_b32_e64 v5, -v5, v5, s[30:31]
	s_waitcnt lgkmcnt(2)
	v_add_f32_e32 v150, v5, v128
	v_cndmask_b32_e64 v5, -v8, v8, s[30:31]
	v_xor_b32_e32 v8, 2, v1
	v_cmp_lt_i32_e64 s[4:5], v8, v2
	s_waitcnt lgkmcnt(1)
	v_add_f32_e32 v3, v5, v3
	v_cndmask_b32_e64 v5, -v14, v14, s[30:31]
	v_cndmask_b32_e64 v8, v1, v8, s[4:5]
	s_waitcnt lgkmcnt(0)
	v_add_f32_e32 v5, v5, v56
	v_lshlrev_b32_e32 v56, 2, v8
	ds_bpermute_b32 v8, v56, v15
	v_and_b32_e32 v14, 2, v0
	v_cmp_eq_u32_e64 s[34:35], 0, v14
	v_cndmask_b32_e64 v14, -v15, v15, s[34:35]
	ds_bpermute_b32 v15, v56, v17
	ds_bpermute_b32 v128, v56, v16
	s_waitcnt lgkmcnt(2)
	v_add_f32_e32 v8, v14, v8
	v_cndmask_b32_e64 v14, -v16, v16, s[34:35]
	ds_bpermute_b32 v16, v56, v18
	v_cndmask_b32_e64 v17, -v17, v17, s[34:35]
	s_waitcnt lgkmcnt(2)
	v_add_f32_e32 v15, v17, v15
	ds_bpermute_b32 v17, v56, v19
	v_cndmask_b32_e64 v18, -v18, v18, s[34:35]
	s_waitcnt lgkmcnt(1)
	v_add_f32_e32 v16, v18, v16
	;; [unrolled: 4-line block ×107, first 2 shown]
	v_cndmask_b32_e64 v123, -v125, v125, s[34:35]
	ds_bpermute_b32 v125, v56, v127
	v_add_f32_e32 v14, v14, v128
	ds_bpermute_b32 v128, v56, v126
	s_waitcnt lgkmcnt(2)
	v_add_f32_e32 v123, v123, v124
	v_cndmask_b32_e64 v124, -v126, v126, s[34:35]
	ds_bpermute_b32 v126, v56, v9
	v_cndmask_b32_e64 v127, -v127, v127, s[34:35]
	s_waitcnt lgkmcnt(2)
	v_add_f32_e32 v125, v127, v125
	ds_bpermute_b32 v127, v56, v13
	v_cndmask_b32_e64 v9, -v9, v9, s[34:35]
	s_waitcnt lgkmcnt(1)
	v_add_f32_e32 v9, v9, v126
	ds_bpermute_b32 v126, v56, v129
	v_cndmask_b32_e64 v13, -v13, v13, s[34:35]
	v_add_f32_e32 v124, v124, v128
	s_waitcnt lgkmcnt(1)
	v_add_f32_e32 v13, v13, v127
	ds_bpermute_b32 v127, v56, v131
	v_cndmask_b32_e64 v128, -v129, v129, s[34:35]
	s_waitcnt lgkmcnt(1)
	v_add_f32_e32 v126, v128, v126
	ds_bpermute_b32 v128, v56, v6
	v_cndmask_b32_e64 v129, -v131, v131, s[34:35]
	;; [unrolled: 4-line block ×10, first 2 shown]
	s_waitcnt lgkmcnt(1)
	v_add_f32_e32 v133, v132, v130
	v_cndmask_b32_e64 v130, -v149, v149, s[34:35]
	ds_bpermute_b32 v132, v56, v150
	s_waitcnt lgkmcnt(1)
	v_add_f32_e32 v147, v130, v128
	ds_bpermute_b32 v128, v56, v3
	v_cndmask_b32_e64 v3, -v3, v3, s[34:35]
	v_cndmask_b32_e64 v130, -v150, v150, s[34:35]
	s_waitcnt lgkmcnt(1)
	v_add_f32_e32 v148, v130, v132
	v_and_b32_e32 v130, 4, v0
	s_waitcnt lgkmcnt(0)
	v_add_f32_e32 v3, v3, v128
	v_xor_b32_e32 v128, 4, v1
	v_cmp_lt_i32_e64 s[4:5], v128, v2
	v_cndmask_b32_e64 v128, v1, v128, s[4:5]
	v_lshlrev_b32_e32 v149, 2, v128
	ds_bpermute_b32 v128, v149, v8
	v_cmp_eq_u32_e64 s[4:5], 0, v130
	v_cndmask_b32_e64 v8, -v8, v8, s[4:5]
	ds_bpermute_b32 v130, v149, v16
	v_cndmask_b32_e64 v16, -v16, v16, s[4:5]
	s_waitcnt lgkmcnt(1)
	v_add_f32_e32 v8, v8, v128
	ds_bpermute_b32 v128, v149, v15
	v_cndmask_b32_e64 v15, -v15, v15, s[4:5]
	s_waitcnt lgkmcnt(1)
	v_add_f32_e32 v16, v16, v130
	;; [unrolled: 4-line block ×118, first 2 shown]
	ds_bpermute_b32 v130, v149, v7
	ds_bpermute_b32 v132, v149, v14
	s_waitcnt lgkmcnt(2)
	v_add_f32_e32 v129, v129, v128
	ds_bpermute_b32 v128, v149, v4
	v_cndmask_b32_e64 v4, -v4, v4, s[4:5]
	v_cndmask_b32_e64 v7, -v7, v7, s[4:5]
	s_waitcnt lgkmcnt(2)
	v_add_f32_e32 v7, v7, v130
	ds_bpermute_b32 v130, v149, v133
	s_waitcnt lgkmcnt(1)
	v_add_f32_e32 v4, v4, v128
	ds_bpermute_b32 v128, v149, v11
	v_cndmask_b32_e64 v11, -v11, v11, s[4:5]
	v_cndmask_b32_e64 v14, -v14, v14, s[4:5]
	v_add_f32_e32 v14, v14, v132
	v_cndmask_b32_e64 v132, -v133, v133, s[4:5]
	s_waitcnt lgkmcnt(0)
	v_add_f32_e32 v11, v11, v128
	ds_bpermute_b32 v128, v149, v147
	v_add_f32_e32 v133, v132, v130
	v_cndmask_b32_e64 v130, -v147, v147, s[4:5]
	ds_bpermute_b32 v134, v56, v5
	v_cndmask_b32_e64 v5, -v5, v5, s[34:35]
	s_waitcnt lgkmcnt(1)
	v_add_f32_e32 v147, v130, v128
	ds_bpermute_b32 v128, v149, v3
	v_cndmask_b32_e64 v3, -v3, v3, s[4:5]
	s_waitcnt lgkmcnt(1)
	v_add_f32_e32 v5, v5, v134
	;; [unrolled: 4-line block ×3, first 2 shown]
	v_xor_b32_e32 v128, 8, v1
	ds_bpermute_b32 v134, v149, v5
	v_cndmask_b32_e64 v5, -v5, v5, s[4:5]
	v_cmp_lt_i32_e64 s[4:5], v128, v2
	v_cndmask_b32_e64 v128, v1, v128, s[4:5]
	v_lshlrev_b32_e32 v149, 2, v128
	ds_bpermute_b32 v128, v149, v8
	s_waitcnt lgkmcnt(2)
	v_add_f32_e32 v148, v130, v132
	v_and_b32_e32 v130, 8, v0
	v_cmp_eq_u32_e64 s[4:5], 0, v130
	v_cndmask_b32_e64 v8, -v8, v8, s[4:5]
	s_waitcnt lgkmcnt(0)
	v_add_f32_e32 v8, v8, v128
	ds_bpermute_b32 v128, v149, v15
	ds_bpermute_b32 v130, v149, v16
	v_cndmask_b32_e64 v15, -v15, v15, s[4:5]
	v_cndmask_b32_e64 v16, -v16, v16, s[4:5]
	ds_bpermute_b32 v132, v149, v14
	s_waitcnt lgkmcnt(2)
	v_add_f32_e32 v15, v15, v128
	ds_bpermute_b32 v128, v149, v17
	s_waitcnt lgkmcnt(2)
	v_add_f32_e32 v16, v16, v130
	ds_bpermute_b32 v130, v149, v18
	v_cndmask_b32_e64 v17, -v17, v17, s[4:5]
	v_cndmask_b32_e64 v18, -v18, v18, s[4:5]
	s_waitcnt lgkmcnt(1)
	v_add_f32_e32 v17, v17, v128
	ds_bpermute_b32 v128, v149, v19
	s_waitcnt lgkmcnt(1)
	v_add_f32_e32 v18, v18, v130
	ds_bpermute_b32 v130, v149, v20
	v_cndmask_b32_e64 v19, -v19, v19, s[4:5]
	v_cndmask_b32_e64 v20, -v20, v20, s[4:5]
	;; [unrolled: 8-line block ×60, first 2 shown]
	s_waitcnt lgkmcnt(1)
	v_add_f32_e32 v11, v11, v128
	ds_bpermute_b32 v128, v149, v147
	v_add_f32_e32 v14, v14, v132
	v_cndmask_b32_e64 v132, -v133, v133, s[4:5]
	s_waitcnt lgkmcnt(1)
	v_add_f32_e32 v133, v132, v130
	v_cndmask_b32_e64 v130, -v147, v147, s[4:5]
	s_waitcnt lgkmcnt(0)
	v_add_f32_e32 v155, v130, v128
	ds_bpermute_b32 v128, v149, v3
	v_cndmask_b32_e64 v3, -v3, v3, s[4:5]
	v_add_f32_e32 v5, v5, v134
	ds_bpermute_b32 v132, v149, v148
	v_cndmask_b32_e64 v130, -v148, v148, s[4:5]
	s_waitcnt lgkmcnt(1)
	v_add_f32_e32 v3, v3, v128
	v_xor_b32_e32 v128, 16, v1
	ds_bpermute_b32 v134, v149, v5
	v_cndmask_b32_e64 v5, -v5, v5, s[4:5]
	v_cmp_lt_i32_e64 s[4:5], v128, v2
	v_cndmask_b32_e64 v128, v1, v128, s[4:5]
	v_lshlrev_b32_e32 v158, 2, v128
	ds_bpermute_b32 v128, v158, v8
	s_waitcnt lgkmcnt(2)
	v_add_f32_e32 v156, v130, v132
	v_and_b32_e32 v130, 16, v0
	v_cmp_eq_u32_e64 s[4:5], 0, v130
	v_cndmask_b32_e64 v8, -v8, v8, s[4:5]
	s_waitcnt lgkmcnt(0)
	v_add_f32_e32 v8, v8, v128
	ds_bpermute_b32 v128, v158, v15
	v_cndmask_b32_e64 v15, -v15, v15, s[4:5]
	ds_bpermute_b32 v130, v158, v16
	v_cndmask_b32_e64 v16, -v16, v16, s[4:5]
	v_add_f32_e32 v5, v5, v134
	s_waitcnt lgkmcnt(1)
	v_add_f32_e32 v15, v15, v128
	ds_bpermute_b32 v128, v158, v17
	v_cndmask_b32_e64 v17, -v17, v17, s[4:5]
	s_waitcnt lgkmcnt(1)
	v_add_f32_e32 v16, v16, v130
	ds_bpermute_b32 v130, v158, v18
	v_cndmask_b32_e64 v18, -v18, v18, s[4:5]
	;; [unrolled: 4-line block ×103, first 2 shown]
	s_waitcnt lgkmcnt(1)
	v_add_f32_e32 v120, v120, v130
	ds_bpermute_b32 v130, v158, v122
	ds_bpermute_b32 v132, v158, v14
	s_waitcnt lgkmcnt(2)
	v_add_f32_e32 v121, v121, v128
	ds_bpermute_b32 v128, v158, v12
	v_cndmask_b32_e64 v12, -v12, v12, s[4:5]
	v_cndmask_b32_e64 v122, -v122, v122, s[4:5]
	;; [unrolled: 1-line block ×3, first 2 shown]
	s_waitcnt lgkmcnt(2)
	v_add_f32_e32 v122, v122, v130
	s_waitcnt lgkmcnt(0)
	v_add_f32_e32 v147, v12, v128
	ds_bpermute_b32 v12, v158, v124
	ds_bpermute_b32 v128, v158, v125
	v_cndmask_b32_e64 v124, -v124, v124, s[4:5]
	v_cndmask_b32_e64 v125, -v125, v125, s[4:5]
	ds_bpermute_b32 v130, v158, v123
	s_waitcnt lgkmcnt(2)
	v_add_f32_e32 v124, v124, v12
	ds_bpermute_b32 v12, v158, v9
	s_waitcnt lgkmcnt(2)
	v_add_f32_e32 v125, v125, v128
	ds_bpermute_b32 v128, v158, v13
	v_cndmask_b32_e64 v9, -v9, v9, s[4:5]
	v_cndmask_b32_e64 v123, -v123, v123, s[4:5]
	s_waitcnt lgkmcnt(1)
	v_add_f32_e32 v148, v9, v12
	ds_bpermute_b32 v9, v158, v126
	v_cndmask_b32_e64 v12, -v13, v13, s[4:5]
	s_waitcnt lgkmcnt(1)
	v_add_f32_e32 v149, v12, v128
	ds_bpermute_b32 v12, v158, v127
	;; [unrolled: 4-line block ×11, first 2 shown]
	v_cndmask_b32_e64 v7, -v133, v133, s[4:5]
	s_waitcnt lgkmcnt(1)
	v_add_f32_e32 v133, v7, v6
	v_cndmask_b32_e64 v6, -v155, v155, s[4:5]
	ds_bpermute_b32 v9, v158, v5
	s_waitcnt lgkmcnt(1)
	v_add_f32_e32 v157, v6, v4
	ds_bpermute_b32 v4, v158, v3
	v_cndmask_b32_e64 v3, -v3, v3, s[4:5]
	ds_bpermute_b32 v7, v158, v156
	v_cndmask_b32_e64 v6, -v156, v156, s[4:5]
	v_add_f32_e32 v14, v14, v132
	s_waitcnt lgkmcnt(1)
	v_add_f32_e32 v155, v3, v4
	v_cndmask_b32_e64 v3, -v5, v5, s[4:5]
	v_add_f32_e32 v156, v3, v9
	v_xor_b32_e32 v3, 32, v1
	v_cmp_lt_i32_e64 s[4:5], v3, v2
	v_cndmask_b32_e64 v1, v1, v3, s[4:5]
	v_lshlrev_b32_e32 v159, 2, v1
	ds_bpermute_b32 v1, v159, v8
	ds_bpermute_b32 v3, v159, v14
	v_and_b32_e32 v2, 32, v0
	ds_bpermute_b32 v4, v159, v15
	v_cmp_eq_u32_e64 s[4:5], 0, v2
	ds_bpermute_b32 v5, v159, v16
	s_waitcnt lgkmcnt(4)
	v_add_f32_e32 v158, v6, v7
	v_cndmask_b32_e64 v2, -v8, v8, s[4:5]
	ds_bpermute_b32 v6, v159, v17
	s_waitcnt lgkmcnt(4)
	v_add_f32_e32 v1, v2, v1
	v_cndmask_b32_e64 v2, -v14, v14, s[4:5]
	;; [unrolled: 4-line block ×50, first 2 shown]
	s_waitcnt lgkmcnt(3)
	v_add_f32_e32 v51, v51, v52
	v_cndmask_b32_e64 v52, -v65, v65, s[4:5]
	s_waitcnt lgkmcnt(2)
	v_add_f32_e32 v52, v52, v53
	v_cndmask_b32_e64 v53, -v66, v66, s[4:5]
	s_waitcnt lgkmcnt(1)
	v_add_f32_e32 v53, v53, v54
	ds_bpermute_b32 v54, v159, v68
	v_cndmask_b32_e64 v57, -v67, v67, s[4:5]
	s_waitcnt lgkmcnt(1)
	v_add_f32_e32 v57, v57, v55
	ds_bpermute_b32 v55, v159, v69
	v_cndmask_b32_e64 v58, -v68, v68, s[4:5]
	s_waitcnt lgkmcnt(1)
	v_add_f32_e32 v58, v58, v54
	ds_bpermute_b32 v54, v159, v70
	v_cndmask_b32_e64 v59, -v69, v69, s[4:5]
	s_waitcnt lgkmcnt(1)
	v_add_f32_e32 v59, v59, v55
	ds_bpermute_b32 v55, v159, v71
	v_cndmask_b32_e64 v60, -v70, v70, s[4:5]
	s_waitcnt lgkmcnt(1)
	v_add_f32_e32 v60, v60, v54
	ds_bpermute_b32 v54, v159, v72
	v_cndmask_b32_e64 v61, -v71, v71, s[4:5]
	s_waitcnt lgkmcnt(1)
	v_add_f32_e32 v61, v61, v55
	ds_bpermute_b32 v55, v159, v73
	v_cndmask_b32_e64 v62, -v72, v72, s[4:5]
	s_waitcnt lgkmcnt(1)
	v_add_f32_e32 v62, v62, v54
	ds_bpermute_b32 v54, v159, v74
	v_cndmask_b32_e64 v63, -v73, v73, s[4:5]
	s_waitcnt lgkmcnt(1)
	v_add_f32_e32 v63, v63, v55
	ds_bpermute_b32 v55, v159, v75
	v_cndmask_b32_e64 v64, -v74, v74, s[4:5]
	s_waitcnt lgkmcnt(1)
	v_add_f32_e32 v64, v64, v54
	ds_bpermute_b32 v54, v159, v76
	v_cndmask_b32_e64 v65, -v75, v75, s[4:5]
	s_waitcnt lgkmcnt(1)
	v_add_f32_e32 v65, v65, v55
	ds_bpermute_b32 v55, v159, v77
	v_cndmask_b32_e64 v66, -v76, v76, s[4:5]
	s_waitcnt lgkmcnt(1)
	v_add_f32_e32 v66, v66, v54
	ds_bpermute_b32 v54, v159, v78
	v_cndmask_b32_e64 v67, -v77, v77, s[4:5]
	s_waitcnt lgkmcnt(1)
	v_add_f32_e32 v67, v67, v55
	ds_bpermute_b32 v55, v159, v79
	v_cndmask_b32_e64 v68, -v78, v78, s[4:5]
	s_waitcnt lgkmcnt(1)
	v_add_f32_e32 v68, v68, v54
	ds_bpermute_b32 v54, v159, v80
	v_cndmask_b32_e64 v69, -v79, v79, s[4:5]
	s_waitcnt lgkmcnt(1)
	v_add_f32_e32 v69, v69, v55
	ds_bpermute_b32 v55, v159, v81
	v_cndmask_b32_e64 v70, -v80, v80, s[4:5]
	s_waitcnt lgkmcnt(1)
	v_add_f32_e32 v70, v70, v54
	ds_bpermute_b32 v54, v159, v82
	v_cndmask_b32_e64 v71, -v81, v81, s[4:5]
	s_waitcnt lgkmcnt(1)
	v_add_f32_e32 v71, v71, v55
	ds_bpermute_b32 v55, v159, v83
	v_cndmask_b32_e64 v72, -v82, v82, s[4:5]
	s_waitcnt lgkmcnt(1)
	v_add_f32_e32 v72, v72, v54
	ds_bpermute_b32 v54, v159, v84
	v_cndmask_b32_e64 v73, -v83, v83, s[4:5]
	s_waitcnt lgkmcnt(1)
	v_add_f32_e32 v73, v73, v55
	ds_bpermute_b32 v55, v159, v85
	v_cndmask_b32_e64 v74, -v84, v84, s[4:5]
	s_waitcnt lgkmcnt(1)
	v_add_f32_e32 v74, v74, v54
	ds_bpermute_b32 v54, v159, v86
	v_cndmask_b32_e64 v75, -v85, v85, s[4:5]
	s_waitcnt lgkmcnt(1)
	v_add_f32_e32 v75, v75, v55
	ds_bpermute_b32 v55, v159, v87
	v_cndmask_b32_e64 v76, -v86, v86, s[4:5]
	s_waitcnt lgkmcnt(1)
	v_add_f32_e32 v76, v76, v54
	ds_bpermute_b32 v54, v159, v88
	v_cndmask_b32_e64 v77, -v87, v87, s[4:5]
	s_waitcnt lgkmcnt(1)
	v_add_f32_e32 v77, v77, v55
	ds_bpermute_b32 v55, v159, v89
	v_cndmask_b32_e64 v78, -v88, v88, s[4:5]
	s_waitcnt lgkmcnt(1)
	v_add_f32_e32 v78, v78, v54
	ds_bpermute_b32 v54, v159, v90
	v_cndmask_b32_e64 v79, -v89, v89, s[4:5]
	s_waitcnt lgkmcnt(1)
	v_add_f32_e32 v79, v79, v55
	ds_bpermute_b32 v55, v159, v91
	v_cndmask_b32_e64 v80, -v90, v90, s[4:5]
	s_waitcnt lgkmcnt(1)
	v_add_f32_e32 v80, v80, v54
	ds_bpermute_b32 v54, v159, v92
	v_cndmask_b32_e64 v81, -v91, v91, s[4:5]
	s_waitcnt lgkmcnt(1)
	v_add_f32_e32 v81, v81, v55
	ds_bpermute_b32 v55, v159, v93
	v_cndmask_b32_e64 v82, -v92, v92, s[4:5]
	s_waitcnt lgkmcnt(1)
	v_add_f32_e32 v82, v82, v54
	ds_bpermute_b32 v54, v159, v94
	v_cndmask_b32_e64 v83, -v93, v93, s[4:5]
	s_waitcnt lgkmcnt(1)
	v_add_f32_e32 v83, v83, v55
	ds_bpermute_b32 v55, v159, v95
	v_cndmask_b32_e64 v84, -v94, v94, s[4:5]
	s_waitcnt lgkmcnt(1)
	v_add_f32_e32 v84, v84, v54
	ds_bpermute_b32 v54, v159, v96
	v_cndmask_b32_e64 v85, -v95, v95, s[4:5]
	s_waitcnt lgkmcnt(1)
	v_add_f32_e32 v85, v85, v55
	ds_bpermute_b32 v55, v159, v97
	v_cndmask_b32_e64 v86, -v96, v96, s[4:5]
	s_waitcnt lgkmcnt(1)
	v_add_f32_e32 v86, v86, v54
	ds_bpermute_b32 v54, v159, v98
	v_cndmask_b32_e64 v87, -v97, v97, s[4:5]
	s_waitcnt lgkmcnt(1)
	v_add_f32_e32 v87, v87, v55
	ds_bpermute_b32 v55, v159, v99
	v_cndmask_b32_e64 v88, -v98, v98, s[4:5]
	s_waitcnt lgkmcnt(1)
	v_add_f32_e32 v88, v88, v54
	ds_bpermute_b32 v54, v159, v100
	v_cndmask_b32_e64 v89, -v99, v99, s[4:5]
	s_waitcnt lgkmcnt(1)
	v_add_f32_e32 v89, v89, v55
	ds_bpermute_b32 v55, v159, v101
	v_cndmask_b32_e64 v90, -v100, v100, s[4:5]
	s_waitcnt lgkmcnt(1)
	v_add_f32_e32 v90, v90, v54
	ds_bpermute_b32 v54, v159, v102
	v_cndmask_b32_e64 v91, -v101, v101, s[4:5]
	s_waitcnt lgkmcnt(1)
	v_add_f32_e32 v91, v91, v55
	ds_bpermute_b32 v55, v159, v103
	v_cndmask_b32_e64 v92, -v102, v102, s[4:5]
	s_waitcnt lgkmcnt(1)
	v_add_f32_e32 v92, v92, v54
	ds_bpermute_b32 v54, v159, v104
	v_cndmask_b32_e64 v93, -v103, v103, s[4:5]
	s_waitcnt lgkmcnt(1)
	v_add_f32_e32 v101, v93, v55
	ds_bpermute_b32 v55, v159, v105
	v_cndmask_b32_e64 v93, -v104, v104, s[4:5]
	s_waitcnt lgkmcnt(1)
	v_add_f32_e32 v102, v93, v54
	ds_bpermute_b32 v54, v159, v106
	v_cndmask_b32_e64 v93, -v105, v105, s[4:5]
	s_waitcnt lgkmcnt(1)
	v_add_f32_e32 v103, v93, v55
	ds_bpermute_b32 v55, v159, v107
	v_cndmask_b32_e64 v93, -v106, v106, s[4:5]
	s_waitcnt lgkmcnt(1)
	v_add_f32_e32 v104, v93, v54
	ds_bpermute_b32 v54, v159, v108
	v_cndmask_b32_e64 v93, -v107, v107, s[4:5]
	s_waitcnt lgkmcnt(1)
	v_add_f32_e32 v105, v93, v55
	ds_bpermute_b32 v55, v159, v109
	v_cndmask_b32_e64 v93, -v108, v108, s[4:5]
	s_waitcnt lgkmcnt(1)
	v_add_f32_e32 v106, v93, v54
	ds_bpermute_b32 v54, v159, v110
	v_cndmask_b32_e64 v93, -v109, v109, s[4:5]
	s_waitcnt lgkmcnt(1)
	v_add_f32_e32 v107, v93, v55
	ds_bpermute_b32 v55, v159, v111
	v_cndmask_b32_e64 v93, -v110, v110, s[4:5]
	s_waitcnt lgkmcnt(1)
	v_add_f32_e32 v108, v93, v54
	ds_bpermute_b32 v54, v159, v112
	v_cndmask_b32_e64 v93, -v111, v111, s[4:5]
	s_waitcnt lgkmcnt(1)
	v_add_f32_e32 v109, v93, v55
	ds_bpermute_b32 v55, v159, v113
	v_cndmask_b32_e64 v93, -v112, v112, s[4:5]
	s_waitcnt lgkmcnt(1)
	v_add_f32_e32 v110, v93, v54
	ds_bpermute_b32 v54, v159, v114
	v_cndmask_b32_e64 v93, -v113, v113, s[4:5]
	s_waitcnt lgkmcnt(1)
	v_add_f32_e32 v111, v93, v55
	ds_bpermute_b32 v55, v159, v115
	v_cndmask_b32_e64 v93, -v114, v114, s[4:5]
	s_waitcnt lgkmcnt(1)
	v_add_f32_e32 v112, v93, v54
	ds_bpermute_b32 v54, v159, v116
	v_cndmask_b32_e64 v93, -v115, v115, s[4:5]
	s_waitcnt lgkmcnt(1)
	v_add_f32_e32 v113, v93, v55
	ds_bpermute_b32 v55, v159, v117
	v_cndmask_b32_e64 v93, -v116, v116, s[4:5]
	s_waitcnt lgkmcnt(1)
	v_add_f32_e32 v114, v93, v54
	ds_bpermute_b32 v54, v159, v118
	v_cndmask_b32_e64 v93, -v117, v117, s[4:5]
	s_waitcnt lgkmcnt(1)
	v_add_f32_e32 v115, v93, v55
	ds_bpermute_b32 v55, v159, v119
	v_cndmask_b32_e64 v93, -v118, v118, s[4:5]
	s_waitcnt lgkmcnt(1)
	v_add_f32_e32 v116, v93, v54
	ds_bpermute_b32 v54, v159, v120
	v_cndmask_b32_e64 v93, -v119, v119, s[4:5]
	s_waitcnt lgkmcnt(1)
	v_add_f32_e32 v117, v93, v55
	ds_bpermute_b32 v55, v159, v121
	v_cndmask_b32_e64 v93, -v120, v120, s[4:5]
	s_waitcnt lgkmcnt(1)
	v_add_f32_e32 v118, v93, v54
	ds_bpermute_b32 v54, v159, v122
	v_cndmask_b32_e64 v93, -v121, v121, s[4:5]
	s_waitcnt lgkmcnt(1)
	v_add_f32_e32 v119, v93, v55
	ds_bpermute_b32 v55, v159, v147
	v_add_f32_e32 v123, v123, v130
	v_cndmask_b32_e64 v93, -v122, v122, s[4:5]
	s_waitcnt lgkmcnt(1)
	v_add_f32_e32 v120, v93, v54
	ds_bpermute_b32 v54, v159, v123
	v_cndmask_b32_e64 v93, -v147, v147, s[4:5]
	s_waitcnt lgkmcnt(1)
	v_add_f32_e32 v121, v93, v55
	ds_bpermute_b32 v55, v159, v124
	;; [unrolled: 4-line block ×16, first 2 shown]
	v_cndmask_b32_e64 v93, -v133, v133, s[4:5]
	s_waitcnt lgkmcnt(1)
	v_add_f32_e32 v132, v93, v54
	v_cndmask_b32_e64 v54, -v157, v157, s[4:5]
	ds_bpermute_b32 v93, v159, v158
	s_waitcnt lgkmcnt(1)
	v_add_f32_e32 v138, v54, v55
	ds_bpermute_b32 v54, v159, v155
	ds_bpermute_b32 v94, v159, v156
	v_cndmask_b32_e64 v55, -v158, v158, s[4:5]
	s_waitcnt lgkmcnt(2)
	v_add_f32_e32 v139, v55, v93
	v_cndmask_b32_e64 v55, -v155, v155, s[4:5]
	s_waitcnt lgkmcnt(1)
	v_add_f32_e32 v140, v55, v54
	;; [unrolled: 3-line block ×3, first 2 shown]
	v_lshrrev_b32_e32 v54, 6, v0
	v_and_b32_e32 v55, 3, v0
	v_lshrrev_b32_e32 v93, 2, v0
	v_xor_b32_e32 v0, v54, v0
	v_lshl_add_u32 v100, v0, 4, 0
	v_lshl_or_b32 v0, v55, 6, v93
	v_xor_b32_e32 v0, v0, v55
	v_lshl_add_u32 v96, v0, 4, 0
	s_waitcnt vmcnt(0)
	s_barrier
	ds_write_b128 v100, v[1:4]
	ds_write_b128 v100, v[5:8] offset:4096
	ds_write_b128 v100, v[9:12] offset:8192
	;; [unrolled: 1-line block ×7, first 2 shown]
	s_waitcnt lgkmcnt(0)
	s_barrier
	ds_read_b128 v[142:145], v96
	ds_read_b128 v[147:150], v96 offset:4096
	ds_read_b128 v[151:154], v96 offset:8192
	;; [unrolled: 1-line block ×7, first 2 shown]
	s_waitcnt lgkmcnt(0)
	s_barrier
	ds_write_b128 v100, v[33:36]
	ds_write_b128 v100, v[37:40] offset:4096
	ds_write_b128 v100, v[41:44] offset:8192
	;; [unrolled: 1-line block ×7, first 2 shown]
	ds_bpermute_b32 v40, v45, v142
	ds_bpermute_b32 v41, v45, v143
	v_cndmask_b32_e64 v42, -v142, v142, s[30:31]
	v_cndmask_b32_e64 v43, -v143, v143, s[30:31]
	;; [unrolled: 1-line block ×3, first 2 shown]
	s_waitcnt lgkmcnt(1)
	v_add_f32_e32 v40, v42, v40
	ds_bpermute_b32 v42, v45, v144
	s_waitcnt lgkmcnt(1)
	v_add_f32_e32 v41, v43, v41
	ds_bpermute_b32 v43, v45, v145
	v_cndmask_b32_e64 v46, -v145, v145, s[30:31]
	v_cndmask_b32_e64 v47, -v147, v147, s[30:31]
	s_waitcnt lgkmcnt(1)
	v_add_f32_e32 v42, v44, v42
	ds_bpermute_b32 v44, v45, v147
	s_waitcnt lgkmcnt(1)
	v_add_f32_e32 v43, v46, v43
	ds_bpermute_b32 v46, v45, v148
	v_cndmask_b32_e64 v48, -v148, v148, s[30:31]
	v_cndmask_b32_e64 v49, -v149, v149, s[30:31]
	;; [unrolled: 8-line block ×11, first 2 shown]
	s_waitcnt lgkmcnt(1)
	v_add_f32_e32 v64, v66, v64
	ds_bpermute_b32 v66, v45, v167
	s_waitcnt lgkmcnt(1)
	v_add_f32_e32 v65, v67, v65
	ds_bpermute_b32 v67, v45, v168
	s_waitcnt lgkmcnt(0)
	s_barrier
	v_add_f32_e32 v66, v68, v66
	ds_bpermute_b32 v68, v45, v169
	s_waitcnt lgkmcnt(0)
	ds_read_b128 v[175:178], v96
	ds_read_b128 v[179:182], v96 offset:4096
	ds_read_b128 v[183:186], v96 offset:8192
	;; [unrolled: 1-line block ×7, first 2 shown]
	s_waitcnt lgkmcnt(0)
	s_barrier
	ds_write_b128 v100, v[69:72]
	ds_write_b128 v100, v[73:76] offset:4096
	ds_write_b128 v100, v[77:80] offset:8192
	;; [unrolled: 1-line block ×7, first 2 shown]
	v_cndmask_b32_e64 v69, -v168, v168, s[30:31]
	v_add_f32_e32 v67, v69, v67
	ds_bpermute_b32 v69, v45, v170
	v_cndmask_b32_e64 v70, -v169, v169, s[30:31]
	v_add_f32_e32 v68, v70, v68
	ds_bpermute_b32 v70, v45, v171
	v_cndmask_b32_e64 v71, -v170, v170, s[30:31]
	s_waitcnt lgkmcnt(1)
	v_add_f32_e32 v69, v71, v69
	ds_bpermute_b32 v71, v45, v172
	v_cndmask_b32_e64 v72, -v171, v171, s[30:31]
	s_waitcnt lgkmcnt(1)
	;; [unrolled: 4-line block ×36, first 2 shown]
	s_barrier
	ds_read_b128 v[207:210], v96
	ds_read_b128 v[211:214], v96 offset:4096
	ds_read_b128 v[215:218], v96 offset:8192
	;; [unrolled: 1-line block ×7, first 2 shown]
	v_add_f32_e32 v106, v108, v106
	s_waitcnt lgkmcnt(7)
	ds_bpermute_b32 v108, v45, v207
	s_waitcnt lgkmcnt(0)
	s_barrier
	ds_write_b128 v100, v[109:112]
	ds_write_b128 v100, v[113:116] offset:4096
	ds_write_b128 v100, v[117:120] offset:8192
	;; [unrolled: 1-line block ×7, first 2 shown]
	v_cndmask_b32_e64 v109, -v206, v206, s[30:31]
	v_add_f32_e32 v107, v109, v107
	ds_bpermute_b32 v109, v45, v208
	v_cndmask_b32_e64 v110, -v207, v207, s[30:31]
	v_add_f32_e32 v108, v110, v108
	ds_bpermute_b32 v110, v45, v209
	v_cndmask_b32_e64 v111, -v208, v208, s[30:31]
	s_waitcnt lgkmcnt(1)
	v_add_f32_e32 v109, v111, v109
	ds_bpermute_b32 v111, v45, v210
	v_cndmask_b32_e64 v112, -v209, v209, s[30:31]
	s_waitcnt lgkmcnt(1)
	;; [unrolled: 4-line block ×30, first 2 shown]
	s_barrier
	ds_read_b128 v[36:39], v96
	ds_read_b128 v[28:31], v96 offset:4096
	ds_read_b128 v[20:23], v96 offset:8192
	;; [unrolled: 1-line block ×5, first 2 shown]
	v_add_f32_e32 v154, v26, v24
	s_waitcnt lgkmcnt(5)
	ds_bpermute_b32 v24, v45, v36
	v_cndmask_b32_e64 v26, -v27, v27, s[30:31]
	v_add_f32_e32 v155, v26, v25
	ds_bpermute_b32 v25, v45, v37
	v_cndmask_b32_e64 v26, -v36, v36, s[30:31]
	s_waitcnt lgkmcnt(1)
	v_add_f32_e32 v156, v26, v24
	ds_bpermute_b32 v24, v45, v38
	v_cndmask_b32_e64 v26, -v37, v37, s[30:31]
	s_waitcnt lgkmcnt(1)
	;; [unrolled: 4-line block ×21, first 2 shown]
	v_add_f32_e32 v176, v8, v12
	ds_bpermute_b32 v8, v45, v10
	ds_read_b128 v[4:7], v96 offset:24576
	ds_read_b128 v[0:3], v96 offset:28672
	v_cndmask_b32_e64 v9, -v9, v9, s[30:31]
	s_waitcnt lgkmcnt(3)
	v_add_f32_e32 v177, v9, v13
	ds_bpermute_b32 v9, v45, v11
	v_cndmask_b32_e64 v10, -v10, v10, s[30:31]
	s_waitcnt lgkmcnt(3)
	v_add_f32_e32 v178, v10, v8
	s_waitcnt lgkmcnt(2)
	ds_bpermute_b32 v8, v45, v4
	v_cndmask_b32_e64 v10, -v11, v11, s[30:31]
	s_waitcnt lgkmcnt(1)
	v_add_f32_e32 v179, v10, v9
	ds_bpermute_b32 v9, v45, v5
	v_cndmask_b32_e64 v4, -v4, v4, s[30:31]
	s_waitcnt lgkmcnt(1)
	v_add_f32_e32 v180, v4, v8
	;; [unrolled: 4-line block ×133, first 2 shown]
	v_cndmask_b32_e64 v94, -v186, v186, s[34:35]
	ds_bpermute_b32 v95, v56, v184
	s_waitcnt lgkmcnt(1)
	v_add_f32_e32 v133, v94, v93
	ds_bpermute_b32 v93, v56, v185
	ds_bpermute_b32 v56, v56, v187
	v_cndmask_b32_e64 v94, -v184, v184, s[34:35]
	s_waitcnt lgkmcnt(2)
	v_add_f32_e32 v134, v94, v95
	v_cndmask_b32_e64 v94, -v185, v185, s[34:35]
	s_waitcnt lgkmcnt(1)
	v_add_f32_e32 v135, v94, v93
	;; [unrolled: 3-line block ×3, first 2 shown]
	s_barrier
	ds_write_b128 v96, v[0:3]
	ds_write_b128 v96, v[4:7] offset:4096
	ds_write_b128 v96, v[8:11] offset:8192
	;; [unrolled: 1-line block ×7, first 2 shown]
	s_waitcnt lgkmcnt(0)
	s_barrier
	ds_read_b128 v[0:3], v100
	ds_read_b128 v[8:11], v100 offset:8192
	ds_read_b128 v[4:7], v100 offset:16384
	;; [unrolled: 1-line block ×7, first 2 shown]
	s_waitcnt lgkmcnt(0)
	s_barrier
	ds_write_b128 v96, v[16:19]
	ds_write_b128 v96, v[24:27] offset:4096
	ds_write_b128 v96, v[32:35] offset:8192
	;; [unrolled: 1-line block ×7, first 2 shown]
	s_waitcnt lgkmcnt(0)
	s_barrier
	ds_read_b128 v[56:59], v100
	ds_read_b128 v[40:43], v100 offset:4096
	ds_read_b128 v[60:63], v100 offset:8192
	;; [unrolled: 1-line block ×7, first 2 shown]
	v_add_f32_e32 v192, v0, v8
	v_add_f32_e32 v194, v4, v12
	s_waitcnt lgkmcnt(5)
	v_add_f32_e32 v215, v56, v60
	s_waitcnt lgkmcnt(1)
	v_add_f32_e32 v223, v32, v48
	v_add_f32_e32 v193, v1, v9
	v_add_f32_e32 v195, v5, v13
	v_add_f32_e32 v160, v192, v194
	v_add_f32_e32 v216, v57, v61
	v_add_f32_e32 v224, v33, v49
	v_add_f32_e32 v168, v215, v223
	v_add_f32_e32 v161, v193, v195
	v_add_f32_e32 v196, v2, v10
	v_add_f32_e32 v198, v6, v14
	s_waitcnt lgkmcnt(0)
	s_barrier
	ds_write_b128 v96, v[65:68]
	ds_write_b128 v96, v[69:72] offset:4096
	ds_write_b128 v96, v[73:76] offset:8192
	;; [unrolled: 1-line block ×7, first 2 shown]
	s_waitcnt lgkmcnt(0)
	s_barrier
	ds_read_b128 v[88:91], v100
	ds_read_b128 v[76:79], v100 offset:4096
	ds_read_b128 v[92:95], v100 offset:8192
	;; [unrolled: 1-line block ×7, first 2 shown]
	s_waitcnt lgkmcnt(0)
	s_barrier
	ds_write_b128 v96, v[105:108]
	ds_write_b128 v96, v[109:112] offset:4096
	ds_write_b128 v96, v[113:116] offset:8192
	;; [unrolled: 1-line block ×7, first 2 shown]
	v_add_f32_e32 v217, v58, v62
	v_add_f32_e32 v225, v34, v50
	;; [unrolled: 1-line block ×7, first 2 shown]
	s_waitcnt lgkmcnt(0)
	s_barrier
	ds_read_b128 v[120:123], v100
	ds_read_b128 v[108:111], v100 offset:4096
	ds_read_b128 v[124:127], v100 offset:8192
	;; [unrolled: 1-line block ×7, first 2 shown]
	v_add_f32_e32 v218, v59, v63
	v_add_f32_e32 v226, v35, v51
	v_add_f32_e32 v170, v217, v225
	buffer_store_dword v128, off, s[48:51], 0 offset:72 ; 4-byte Folded Spill
	v_add_f32_e32 v128, v161, v169
	v_add_f32_e32 v163, v197, v199
	v_add_f32_e32 v200, v20, v28
	v_add_f32_e32 v202, v36, v44
	v_add_f32_e32 v219, v40, v52
	v_add_f32_e32 v227, v16, v24
	v_add_f32_e32 v171, v218, v226
	buffer_store_dword v128, off, s[48:51], 0 offset:76 ; 4-byte Folded Spill
	v_add_f32_e32 v128, v162, v170
	v_add_f32_e32 v201, v21, v29
	v_add_f32_e32 v203, v37, v45
	v_add_f32_e32 v164, v200, v202
	;; [unrolled: 8-line block ×5, first 2 shown]
	s_waitcnt lgkmcnt(5)
	v_add_f32_e32 v247, v120, v124
	s_waitcnt lgkmcnt(1)
	v_add_f32_e32 v255, v104, v112
	v_add_f32_e32 v175, v222, v230
	buffer_store_dword v128, off, s[48:51], 0 offset:92 ; 4-byte Folded Spill
	v_add_f32_e32 v128, v166, v174
	v_add_f32_e32 v232, v89, v93
	v_add_f32_e32 v240, v73, v81
	v_add_f32_e32 v248, v121, v125
	v_add_f32_e32 v134, v105, v113
	v_add_f32_e32 v176, v231, v239
	v_add_f32_e32 v184, v247, v255
	buffer_store_dword v128, off, s[48:51], 0 offset:96 ; 4-byte Folded Spill
	v_add_f32_e32 v128, v167, v175
	v_add_f32_e32 v233, v90, v94
	v_add_f32_e32 v241, v74, v82
	v_add_f32_e32 v249, v122, v126
	v_add_f32_e32 v135, v106, v114
	;; [unrolled: 8-line block ×3, first 2 shown]
	v_add_f32_e32 v178, v233, v241
	v_add_f32_e32 v186, v249, v135
	buffer_store_dword v128, off, s[48:51], 0 offset:104 ; 4-byte Folded Spill
	v_add_f32_e32 v128, v177, v185
	s_mul_i32 s4, s46, s7
	s_mul_hi_u32 s5, s46, s6
	v_add_f32_e32 v235, v76, v84
	v_add_f32_e32 v243, v64, v68
	v_add_f32_e32 v251, v108, v116
	s_waitcnt lgkmcnt(0)
	v_add_f32_e32 v137, v96, v100
	v_add_f32_e32 v179, v234, v242
	;; [unrolled: 1-line block ×3, first 2 shown]
	buffer_store_dword v128, off, s[48:51], 0 offset:108 ; 4-byte Folded Spill
	v_add_f32_e32 v128, v178, v186
	s_add_i32 s4, s5, s4
	s_mul_i32 s5, s47, s6
	v_add_f32_e32 v236, v77, v85
	v_add_f32_e32 v244, v65, v69
	;; [unrolled: 1-line block ×6, first 2 shown]
	buffer_store_dword v128, off, s[48:51], 0 offset:112 ; 4-byte Folded Spill
	v_add_f32_e32 v128, v179, v187
	s_add_i32 s5, s4, s5
	s_mul_i32 s4, s46, s6
	v_add_f32_e32 v237, v78, v86
	v_add_f32_e32 v245, v66, v70
	;; [unrolled: 1-line block ×6, first 2 shown]
	buffer_store_dword v128, off, s[48:51], 0 offset:116 ; 4-byte Folded Spill
	v_add_f32_e32 v128, v180, v188
	s_lshl_b64 s[4:5], s[4:5], 1
	v_add_f32_e32 v238, v79, v87
	v_add_f32_e32 v246, v67, v71
	;; [unrolled: 1-line block ×6, first 2 shown]
	buffer_store_dword v128, off, s[48:51], 0 offset:120 ; 4-byte Folded Spill
	v_add_f32_e32 v128, v181, v189
	s_add_u32 s6, s42, s4
	v_add_f32_e32 v183, v238, v246
	v_add_f32_e32 v191, v254, v140
	buffer_store_dword v128, off, s[48:51], 0 offset:124 ; 4-byte Folded Spill
	v_add_f32_e32 v128, v182, v190
	s_addc_u32 s7, s43, s5
	buffer_store_dword v128, off, s[48:51], 0 offset:128 ; 4-byte Folded Spill
	v_add_f32_e32 v128, v183, v191
	buffer_store_dword v128, off, s[48:51], 0 offset:132 ; 4-byte Folded Spill
	s_and_saveexec_b64 s[30:31], s[28:29]
	s_cbranch_execz .LBB38_34
; %bb.33:
	v_add_f32_e32 v128, v167, v175
	v_add_f32_e32 v129, v183, v191
	;; [unrolled: 1-line block ×23, first 2 shown]
	v_mul_f32_e32 v128, s33, v128
	v_add_f32_e32 v142, v142, v143
	v_bfe_u32 v143, v128, 16, 1
	s_movk_i32 s28, 0x7fff
	v_add3_u32 v143, v143, v128, s28
	v_or_b32_e32 v144, 0x400000, v128
	v_cmp_u_f32_e64 s[4:5], v128, v128
	v_mul_f32_e32 v129, s33, v129
	v_cndmask_b32_e64 v128, v143, v144, s[4:5]
	v_bfe_u32 v143, v129, 16, 1
	v_add3_u32 v143, v143, v129, s28
	v_or_b32_e32 v144, 0x400000, v129
	v_cmp_u_f32_e64 s[4:5], v129, v129
	v_mul_f32_e32 v130, s33, v130
	v_cndmask_b32_e64 v129, v143, v144, s[4:5]
	v_bfe_u32 v143, v130, 16, 1
	;; [unrolled: 6-line block ×3, first 2 shown]
	v_add3_u32 v143, v143, v131, s28
	v_or_b32_e32 v144, 0x400000, v131
	v_cmp_u_f32_e64 s[4:5], v131, v131
	v_mul_f32_e32 v131, s33, v132
	v_bfe_u32 v132, v131, 16, 1
	v_cndmask_b32_e64 v143, v143, v144, s[4:5]
	v_add3_u32 v132, v132, v131, s28
	v_or_b32_e32 v144, 0x400000, v131
	v_cmp_u_f32_e64 s[4:5], v131, v131
	v_mul_f32_e32 v131, s33, v133
	v_bfe_u32 v133, v131, 16, 1
	v_cndmask_b32_e64 v132, v132, v144, s[4:5]
	;; [unrolled: 6-line block ×4, first 2 shown]
	v_add3_u32 v142, v142, v131, s28
	v_or_b32_e32 v144, 0x400000, v131
	v_cmp_u_f32_e64 s[4:5], v131, v131
	v_cndmask_b32_e64 v142, v142, v144, s[4:5]
	s_mov_b32 s4, 0x7060302
	v_perm_b32 v131, v128, v129, s4
	v_perm_b32 v130, v130, v143, s4
	;; [unrolled: 1-line block ×4, first 2 shown]
	global_store_dwordx4 v146, v[128:131], s[6:7]
.LBB38_34:
	s_or_b64 exec, exec, s[30:31]
	v_sub_f32_e32 v142, v0, v8
	v_sub_f32_e32 v144, v4, v12
	;; [unrolled: 1-line block ×7, first 2 shown]
	v_add_f32_e32 v146, v142, v144
	v_sub_f32_e32 v38, v38, v46
	v_sub_f32_e32 v46, v57, v61
	;; [unrolled: 1-line block ×4, first 2 shown]
	v_add_f32_e32 v64, v47, v32
	v_add_f32_e32 v208, v141, v143
	v_sub_f32_e32 v128, v2, v10
	v_sub_f32_e32 v132, v6, v14
	;; [unrolled: 1-line block ×5, first 2 shown]
	v_add_f32_e32 v65, v46, v33
	v_add_f32_e32 v8, v146, v64
	v_sub_f32_e32 v145, v3, v11
	v_sub_f32_e32 v130, v7, v15
	v_add_f32_e32 v209, v128, v132
	v_sub_f32_e32 v56, v59, v63
	v_sub_f32_e32 v35, v35, v51
	;; [unrolled: 1-line block ×3, first 2 shown]
	v_add_f32_e32 v66, v57, v34
	buffer_store_dword v8, off, s[48:51], 0 offset:136 ; 4-byte Folded Spill
	v_add_f32_e32 v8, v208, v65
	v_add_f32_e32 v210, v145, v130
	v_sub_f32_e32 v131, v20, v28
	v_sub_f32_e32 v36, v36, v44
	;; [unrolled: 1-line block ×5, first 2 shown]
	v_add_f32_e32 v67, v56, v35
	buffer_store_dword v8, off, s[48:51], 0 offset:140 ; 4-byte Folded Spill
	v_add_f32_e32 v8, v209, v66
	v_sub_f32_e32 v129, v21, v29
	v_sub_f32_e32 v37, v37, v45
	v_add_f32_e32 v211, v131, v36
	v_sub_f32_e32 v41, v41, v53
	v_sub_f32_e32 v48, v17, v25
	v_add_f32_e32 v68, v40, v49
	buffer_store_dword v8, off, s[48:51], 0 offset:144 ; 4-byte Folded Spill
	v_add_f32_e32 v8, v210, v67
	v_add_f32_e32 v212, v129, v37
	v_sub_f32_e32 v45, v22, v30
	v_sub_f32_e32 v42, v42, v54
	;; [unrolled: 1-line block ×3, first 2 shown]
	v_add_f32_e32 v69, v41, v48
	buffer_store_dword v8, off, s[48:51], 0 offset:148 ; 4-byte Folded Spill
	v_add_f32_e32 v8, v211, v68
	v_sub_f32_e32 v44, v23, v31
	v_add_f32_e32 v213, v45, v38
	v_sub_f32_e32 v43, v43, v55
	v_sub_f32_e32 v50, v19, v27
	v_add_f32_e32 v70, v42, v51
	buffer_store_dword v8, off, s[48:51], 0 offset:152 ; 4-byte Folded Spill
	v_add_f32_e32 v8, v212, v69
	v_add_f32_e32 v214, v44, v39
	v_sub_f32_e32 v52, v89, v93
	v_sub_f32_e32 v53, v88, v92
	;; [unrolled: 1-line block ×28, first 2 shown]
	v_add_f32_e32 v71, v43, v50
	buffer_store_dword v8, off, s[48:51], 0 offset:156 ; 4-byte Folded Spill
	v_add_f32_e32 v8, v213, v70
	v_add_f32_e32 v72, v53, v63
	;; [unrolled: 1-line block ×17, first 2 shown]
	buffer_store_dword v8, off, s[48:51], 0 offset:160 ; 4-byte Folded Spill
	v_add_f32_e32 v8, v214, v71
	buffer_store_dword v8, off, s[48:51], 0 offset:164 ; 4-byte Folded Spill
	v_add_f32_e32 v8, v72, v80
	v_add_f32_e32 v9, v73, v81
	;; [unrolled: 1-line block ×8, first 2 shown]
	s_and_saveexec_b64 s[28:29], s[26:27]
	s_cbranch_execz .LBB38_36
; %bb.35:
	v_add_f32_e32 v16, v146, v64
	v_add_f32_e32 v16, v16, v8
	;; [unrolled: 1-line block ×3, first 2 shown]
	v_mul_f32_e32 v16, s33, v16
	v_add_f32_e32 v17, v17, v9
	v_bfe_u32 v24, v16, 16, 1
	s_movk_i32 s26, 0x7fff
	v_add_f32_e32 v18, v209, v66
	v_add3_u32 v24, v24, v16, s26
	v_or_b32_e32 v25, 0x400000, v16
	v_cmp_u_f32_e64 s[4:5], v16, v16
	v_mul_f32_e32 v17, s33, v17
	v_add_f32_e32 v18, v18, v10
	v_cndmask_b32_e64 v16, v24, v25, s[4:5]
	v_bfe_u32 v24, v17, 16, 1
	v_add3_u32 v24, v24, v17, s26
	v_or_b32_e32 v25, 0x400000, v17
	v_cmp_u_f32_e64 s[4:5], v17, v17
	v_mul_f32_e32 v17, s33, v18
	v_add_f32_e32 v19, v210, v67
	v_bfe_u32 v18, v17, 16, 1
	v_add_f32_e32 v19, v19, v11
	v_cndmask_b32_e64 v24, v24, v25, s[4:5]
	v_add3_u32 v18, v18, v17, s26
	v_or_b32_e32 v25, 0x400000, v17
	v_cmp_u_f32_e64 s[4:5], v17, v17
	v_add_f32_e32 v20, v211, v68
	v_cndmask_b32_e64 v17, v18, v25, s[4:5]
	v_mul_f32_e32 v18, s33, v19
	v_add_f32_e32 v20, v20, v12
	v_bfe_u32 v19, v18, 16, 1
	v_add3_u32 v19, v19, v18, s26
	v_or_b32_e32 v25, 0x400000, v18
	v_cmp_u_f32_e64 s[4:5], v18, v18
	v_mul_f32_e32 v18, s33, v20
	v_add_f32_e32 v21, v212, v69
	v_cndmask_b32_e64 v25, v19, v25, s[4:5]
	v_bfe_u32 v19, v18, 16, 1
	v_add_f32_e32 v21, v21, v13
	v_add3_u32 v19, v19, v18, s26
	v_or_b32_e32 v20, 0x400000, v18
	v_cmp_u_f32_e64 s[4:5], v18, v18
	v_add_f32_e32 v22, v213, v70
	v_cndmask_b32_e64 v18, v19, v20, s[4:5]
	v_mul_f32_e32 v19, s33, v21
	v_add_f32_e32 v22, v22, v14
	v_bfe_u32 v20, v19, 16, 1
	v_add3_u32 v20, v20, v19, s26
	v_or_b32_e32 v21, 0x400000, v19
	v_cmp_u_f32_e64 s[4:5], v19, v19
	v_mul_f32_e32 v19, s33, v22
	v_add_f32_e32 v23, v214, v71
	v_cndmask_b32_e64 v20, v20, v21, s[4:5]
	v_bfe_u32 v21, v19, 16, 1
	v_add_f32_e32 v23, v23, v15
	v_add3_u32 v21, v21, v19, s26
	v_or_b32_e32 v22, 0x400000, v19
	v_cmp_u_f32_e64 s[4:5], v19, v19
	v_cndmask_b32_e64 v19, v21, v22, s[4:5]
	v_mul_f32_e32 v21, s33, v23
	v_bfe_u32 v22, v21, 16, 1
	v_add3_u32 v22, v22, v21, s26
	v_or_b32_e32 v23, 0x400000, v21
	v_cmp_u_f32_e64 s[4:5], v21, v21
	v_cndmask_b32_e64 v21, v22, v23, s[4:5]
	s_mov_b32 s4, 0x7060302
	v_perm_b32 v18, v20, v18, s4
	buffer_load_dword v20, off, s[48:51], 0 offset:68 ; 4-byte Folded Reload
	v_perm_b32 v19, v21, v19, s4
	v_perm_b32 v17, v25, v17, s4
	;; [unrolled: 1-line block ×3, first 2 shown]
	s_waitcnt vmcnt(0)
	global_store_dwordx4 v20, v[16:19], s[6:7]
.LBB38_36:
	s_or_b64 exec, exec, s[28:29]
	v_sub_f32_e32 v88, v192, v194
	v_sub_f32_e32 v89, v193, v195
	;; [unrolled: 1-line block ×32, first 2 shown]
	v_add_f32_e32 v16, v88, v96
	v_add_f32_e32 v17, v89, v97
	;; [unrolled: 1-line block ×16, first 2 shown]
	s_and_saveexec_b64 s[26:27], s[24:25]
	s_cbranch_execz .LBB38_38
; %bb.37:
	v_add_f32_e32 v120, v16, v24
	v_mul_f32_e32 v120, s33, v120
	v_add_f32_e32 v121, v17, v25
	v_bfe_u32 v134, v120, 16, 1
	s_movk_i32 s24, 0x7fff
	v_add3_u32 v134, v134, v120, s24
	v_or_b32_e32 v135, 0x400000, v120
	v_cmp_u_f32_e64 s[4:5], v120, v120
	v_mul_f32_e32 v121, s33, v121
	v_add_f32_e32 v122, v18, v26
	v_cndmask_b32_e64 v120, v134, v135, s[4:5]
	v_bfe_u32 v134, v121, 16, 1
	v_add3_u32 v134, v134, v121, s24
	v_or_b32_e32 v135, 0x400000, v121
	v_cmp_u_f32_e64 s[4:5], v121, v121
	v_mul_f32_e32 v121, s33, v122
	v_bfe_u32 v122, v121, 16, 1
	v_add_f32_e32 v123, v19, v27
	v_cndmask_b32_e64 v134, v134, v135, s[4:5]
	v_add3_u32 v122, v122, v121, s24
	v_or_b32_e32 v135, 0x400000, v121
	v_cmp_u_f32_e64 s[4:5], v121, v121
	v_cndmask_b32_e64 v121, v122, v135, s[4:5]
	v_mul_f32_e32 v122, s33, v123
	v_add_f32_e32 v124, v20, v28
	v_bfe_u32 v123, v122, 16, 1
	v_add3_u32 v123, v123, v122, s24
	v_or_b32_e32 v135, 0x400000, v122
	v_cmp_u_f32_e64 s[4:5], v122, v122
	v_mul_f32_e32 v122, s33, v124
	v_cndmask_b32_e64 v135, v123, v135, s[4:5]
	v_bfe_u32 v123, v122, 16, 1
	v_add_f32_e32 v125, v21, v29
	v_add3_u32 v123, v123, v122, s24
	v_or_b32_e32 v124, 0x400000, v122
	v_cmp_u_f32_e64 s[4:5], v122, v122
	v_cndmask_b32_e64 v122, v123, v124, s[4:5]
	v_mul_f32_e32 v123, s33, v125
	v_add_f32_e32 v126, v22, v30
	v_bfe_u32 v124, v123, 16, 1
	v_add3_u32 v124, v124, v123, s24
	v_or_b32_e32 v125, 0x400000, v123
	v_cmp_u_f32_e64 s[4:5], v123, v123
	v_mul_f32_e32 v123, s33, v126
	v_cndmask_b32_e64 v124, v124, v125, s[4:5]
	v_bfe_u32 v125, v123, 16, 1
	v_add_f32_e32 v127, v23, v31
	v_add3_u32 v125, v125, v123, s24
	v_or_b32_e32 v126, 0x400000, v123
	v_cmp_u_f32_e64 s[4:5], v123, v123
	v_cndmask_b32_e64 v123, v125, v126, s[4:5]
	v_mul_f32_e32 v125, s33, v127
	v_bfe_u32 v126, v125, 16, 1
	v_add3_u32 v126, v126, v125, s24
	v_or_b32_e32 v127, 0x400000, v125
	v_cmp_u_f32_e64 s[4:5], v125, v125
	v_cndmask_b32_e64 v125, v126, v127, s[4:5]
	s_mov_b32 s4, 0x7060302
	v_perm_b32 v122, v124, v122, s4
	buffer_load_dword v124, off, s[48:51], 0 offset:64 ; 4-byte Folded Reload
	v_perm_b32 v123, v125, v123, s4
	v_perm_b32 v121, v135, v121, s4
	v_perm_b32 v120, v134, v120, s4
	s_waitcnt vmcnt(0)
	global_store_dwordx4 v124, v[120:123], s[6:7]
.LBB38_38:
	s_or_b64 exec, exec, s[26:27]
	v_sub_f32_e32 v120, v141, v143
	v_sub_f32_e32 v121, v142, v144
	;; [unrolled: 1-line block ×32, first 2 shown]
	v_add_f32_e32 v32, v121, v145
	v_add_f32_e32 v33, v120, v144
	;; [unrolled: 1-line block ×16, first 2 shown]
	s_and_saveexec_b64 s[24:25], s[22:23]
	s_cbranch_execz .LBB38_40
; %bb.39:
	v_add_f32_e32 v0, v32, v40
	v_mul_f32_e32 v0, s33, v0
	v_add_f32_e32 v1, v33, v41
	v_bfe_u32 v48, v0, 16, 1
	s_movk_i32 s22, 0x7fff
	v_add3_u32 v48, v48, v0, s22
	v_or_b32_e32 v49, 0x400000, v0
	v_cmp_u_f32_e64 s[4:5], v0, v0
	v_mul_f32_e32 v1, s33, v1
	v_add_f32_e32 v2, v34, v42
	v_cndmask_b32_e64 v0, v48, v49, s[4:5]
	v_bfe_u32 v48, v1, 16, 1
	v_add3_u32 v48, v48, v1, s22
	v_or_b32_e32 v49, 0x400000, v1
	v_cmp_u_f32_e64 s[4:5], v1, v1
	v_mul_f32_e32 v1, s33, v2
	v_bfe_u32 v2, v1, 16, 1
	v_add_f32_e32 v3, v35, v43
	v_cndmask_b32_e64 v48, v48, v49, s[4:5]
	v_add3_u32 v2, v2, v1, s22
	v_or_b32_e32 v49, 0x400000, v1
	v_cmp_u_f32_e64 s[4:5], v1, v1
	v_cndmask_b32_e64 v1, v2, v49, s[4:5]
	v_mul_f32_e32 v2, s33, v3
	v_add_f32_e32 v4, v36, v44
	v_bfe_u32 v3, v2, 16, 1
	v_add3_u32 v3, v3, v2, s22
	v_or_b32_e32 v49, 0x400000, v2
	v_cmp_u_f32_e64 s[4:5], v2, v2
	v_mul_f32_e32 v2, s33, v4
	v_cndmask_b32_e64 v49, v3, v49, s[4:5]
	v_bfe_u32 v3, v2, 16, 1
	v_add_f32_e32 v5, v37, v45
	v_add3_u32 v3, v3, v2, s22
	v_or_b32_e32 v4, 0x400000, v2
	v_cmp_u_f32_e64 s[4:5], v2, v2
	v_cndmask_b32_e64 v2, v3, v4, s[4:5]
	v_mul_f32_e32 v3, s33, v5
	v_add_f32_e32 v6, v38, v46
	v_bfe_u32 v4, v3, 16, 1
	v_add3_u32 v4, v4, v3, s22
	v_or_b32_e32 v5, 0x400000, v3
	v_cmp_u_f32_e64 s[4:5], v3, v3
	v_mul_f32_e32 v3, s33, v6
	v_cndmask_b32_e64 v4, v4, v5, s[4:5]
	v_bfe_u32 v5, v3, 16, 1
	v_add_f32_e32 v7, v39, v47
	v_add3_u32 v5, v5, v3, s22
	v_or_b32_e32 v6, 0x400000, v3
	v_cmp_u_f32_e64 s[4:5], v3, v3
	v_cndmask_b32_e64 v3, v5, v6, s[4:5]
	v_mul_f32_e32 v5, s33, v7
	v_bfe_u32 v6, v5, 16, 1
	v_add3_u32 v6, v6, v5, s22
	v_or_b32_e32 v7, 0x400000, v5
	v_cmp_u_f32_e64 s[4:5], v5, v5
	v_cndmask_b32_e64 v5, v6, v7, s[4:5]
	s_mov_b32 s4, 0x7060302
	v_perm_b32 v2, v4, v2, s4
	buffer_load_dword v4, off, s[48:51], 0 offset:60 ; 4-byte Folded Reload
	v_perm_b32 v3, v5, v3, s4
	v_perm_b32 v1, v49, v1, s4
	;; [unrolled: 1-line block ×3, first 2 shown]
	s_waitcnt vmcnt(0)
	global_store_dwordx4 v4, v[0:3], s[6:7]
.LBB38_40:
	s_or_b64 exec, exec, s[24:25]
	v_sub_f32_e32 v48, v160, v168
	v_sub_f32_e32 v49, v161, v169
	;; [unrolled: 1-line block ×16, first 2 shown]
	s_and_saveexec_b64 s[22:23], s[20:21]
	s_cbranch_execz .LBB38_42
; %bb.41:
	v_add_f32_e32 v0, v48, v56
	v_mul_f32_e32 v0, s33, v0
	v_add_f32_e32 v1, v49, v57
	v_bfe_u32 v128, v0, 16, 1
	s_movk_i32 s20, 0x7fff
	v_add3_u32 v128, v128, v0, s20
	v_or_b32_e32 v129, 0x400000, v0
	v_cmp_u_f32_e64 s[4:5], v0, v0
	v_mul_f32_e32 v1, s33, v1
	v_add_f32_e32 v2, v50, v58
	v_cndmask_b32_e64 v0, v128, v129, s[4:5]
	v_bfe_u32 v128, v1, 16, 1
	v_add3_u32 v128, v128, v1, s20
	v_or_b32_e32 v129, 0x400000, v1
	v_cmp_u_f32_e64 s[4:5], v1, v1
	v_mul_f32_e32 v1, s33, v2
	v_bfe_u32 v2, v1, 16, 1
	v_add_f32_e32 v3, v51, v59
	v_cndmask_b32_e64 v128, v128, v129, s[4:5]
	v_add3_u32 v2, v2, v1, s20
	v_or_b32_e32 v129, 0x400000, v1
	v_cmp_u_f32_e64 s[4:5], v1, v1
	v_cndmask_b32_e64 v1, v2, v129, s[4:5]
	v_mul_f32_e32 v2, s33, v3
	v_add_f32_e32 v4, v52, v60
	v_bfe_u32 v3, v2, 16, 1
	v_add3_u32 v3, v3, v2, s20
	v_or_b32_e32 v129, 0x400000, v2
	v_cmp_u_f32_e64 s[4:5], v2, v2
	v_mul_f32_e32 v2, s33, v4
	v_cndmask_b32_e64 v129, v3, v129, s[4:5]
	v_bfe_u32 v3, v2, 16, 1
	v_add_f32_e32 v5, v53, v61
	v_add3_u32 v3, v3, v2, s20
	v_or_b32_e32 v4, 0x400000, v2
	v_cmp_u_f32_e64 s[4:5], v2, v2
	v_cndmask_b32_e64 v2, v3, v4, s[4:5]
	v_mul_f32_e32 v3, s33, v5
	v_add_f32_e32 v6, v54, v62
	v_bfe_u32 v4, v3, 16, 1
	v_add3_u32 v4, v4, v3, s20
	v_or_b32_e32 v5, 0x400000, v3
	v_cmp_u_f32_e64 s[4:5], v3, v3
	v_mul_f32_e32 v3, s33, v6
	v_cndmask_b32_e64 v4, v4, v5, s[4:5]
	v_bfe_u32 v5, v3, 16, 1
	v_add_f32_e32 v7, v55, v63
	v_add3_u32 v5, v5, v3, s20
	v_or_b32_e32 v6, 0x400000, v3
	v_cmp_u_f32_e64 s[4:5], v3, v3
	v_cndmask_b32_e64 v3, v5, v6, s[4:5]
	v_mul_f32_e32 v5, s33, v7
	v_bfe_u32 v6, v5, 16, 1
	v_add3_u32 v6, v6, v5, s20
	v_or_b32_e32 v7, 0x400000, v5
	v_cmp_u_f32_e64 s[4:5], v5, v5
	v_cndmask_b32_e64 v5, v6, v7, s[4:5]
	s_mov_b32 s4, 0x7060302
	v_perm_b32 v2, v4, v2, s4
	buffer_load_dword v4, off, s[48:51], 0 offset:56 ; 4-byte Folded Reload
	v_perm_b32 v3, v5, v3, s4
	v_perm_b32 v1, v129, v1, s4
	;; [unrolled: 1-line block ×3, first 2 shown]
	s_waitcnt vmcnt(0)
	global_store_dwordx4 v4, v[0:3], s[6:7]
.LBB38_42:
	s_or_b64 exec, exec, s[22:23]
	v_sub_f32_e32 v64, v146, v64
	v_sub_f32_e32 v65, v208, v65
	;; [unrolled: 1-line block ×16, first 2 shown]
	s_and_saveexec_b64 s[20:21], s[18:19]
	s_cbranch_execz .LBB38_44
; %bb.43:
	v_add_f32_e32 v0, v64, v80
	v_mul_f32_e32 v0, s33, v0
	v_add_f32_e32 v1, v65, v81
	v_bfe_u32 v72, v0, 16, 1
	s_movk_i32 s18, 0x7fff
	v_add3_u32 v72, v72, v0, s18
	v_or_b32_e32 v73, 0x400000, v0
	v_cmp_u_f32_e64 s[4:5], v0, v0
	v_mul_f32_e32 v1, s33, v1
	v_add_f32_e32 v2, v66, v82
	v_cndmask_b32_e64 v0, v72, v73, s[4:5]
	v_bfe_u32 v72, v1, 16, 1
	v_add3_u32 v72, v72, v1, s18
	v_or_b32_e32 v73, 0x400000, v1
	v_cmp_u_f32_e64 s[4:5], v1, v1
	v_mul_f32_e32 v1, s33, v2
	v_bfe_u32 v2, v1, 16, 1
	v_add_f32_e32 v3, v67, v83
	v_cndmask_b32_e64 v72, v72, v73, s[4:5]
	v_add3_u32 v2, v2, v1, s18
	v_or_b32_e32 v73, 0x400000, v1
	v_cmp_u_f32_e64 s[4:5], v1, v1
	v_cndmask_b32_e64 v1, v2, v73, s[4:5]
	v_mul_f32_e32 v2, s33, v3
	v_add_f32_e32 v4, v68, v84
	v_bfe_u32 v3, v2, 16, 1
	v_add3_u32 v3, v3, v2, s18
	v_or_b32_e32 v73, 0x400000, v2
	v_cmp_u_f32_e64 s[4:5], v2, v2
	v_mul_f32_e32 v2, s33, v4
	v_cndmask_b32_e64 v73, v3, v73, s[4:5]
	v_bfe_u32 v3, v2, 16, 1
	v_add_f32_e32 v5, v69, v85
	v_add3_u32 v3, v3, v2, s18
	v_or_b32_e32 v4, 0x400000, v2
	v_cmp_u_f32_e64 s[4:5], v2, v2
	v_cndmask_b32_e64 v2, v3, v4, s[4:5]
	v_mul_f32_e32 v3, s33, v5
	v_add_f32_e32 v6, v70, v86
	v_bfe_u32 v4, v3, 16, 1
	v_add3_u32 v4, v4, v3, s18
	v_or_b32_e32 v5, 0x400000, v3
	v_cmp_u_f32_e64 s[4:5], v3, v3
	v_mul_f32_e32 v3, s33, v6
	v_cndmask_b32_e64 v4, v4, v5, s[4:5]
	v_bfe_u32 v5, v3, 16, 1
	v_add_f32_e32 v7, v71, v87
	v_add3_u32 v5, v5, v3, s18
	v_or_b32_e32 v6, 0x400000, v3
	v_cmp_u_f32_e64 s[4:5], v3, v3
	v_cndmask_b32_e64 v3, v5, v6, s[4:5]
	v_mul_f32_e32 v5, s33, v7
	v_bfe_u32 v6, v5, 16, 1
	v_add3_u32 v6, v6, v5, s18
	v_or_b32_e32 v7, 0x400000, v5
	v_cmp_u_f32_e64 s[4:5], v5, v5
	v_cndmask_b32_e64 v5, v6, v7, s[4:5]
	s_mov_b32 s4, 0x7060302
	v_perm_b32 v2, v4, v2, s4
	buffer_load_dword v4, off, s[48:51], 0 offset:52 ; 4-byte Folded Reload
	v_perm_b32 v3, v5, v3, s4
	v_perm_b32 v1, v73, v1, s4
	;; [unrolled: 1-line block ×3, first 2 shown]
	s_waitcnt vmcnt(0)
	global_store_dwordx4 v4, v[0:3], s[6:7]
.LBB38_44:
	s_or_b64 exec, exec, s[20:21]
	v_sub_f32_e32 v72, v88, v96
	v_sub_f32_e32 v73, v89, v97
	;; [unrolled: 1-line block ×16, first 2 shown]
	s_and_saveexec_b64 s[18:19], s[16:17]
	s_cbranch_execz .LBB38_46
; %bb.45:
	v_add_f32_e32 v0, v72, v96
	v_mul_f32_e32 v0, s33, v0
	v_add_f32_e32 v1, v73, v97
	v_bfe_u32 v88, v0, 16, 1
	s_movk_i32 s16, 0x7fff
	v_add3_u32 v88, v88, v0, s16
	v_or_b32_e32 v89, 0x400000, v0
	v_cmp_u_f32_e64 s[4:5], v0, v0
	v_mul_f32_e32 v1, s33, v1
	v_add_f32_e32 v2, v74, v98
	v_cndmask_b32_e64 v0, v88, v89, s[4:5]
	v_bfe_u32 v88, v1, 16, 1
	v_add3_u32 v88, v88, v1, s16
	v_or_b32_e32 v89, 0x400000, v1
	v_cmp_u_f32_e64 s[4:5], v1, v1
	v_mul_f32_e32 v1, s33, v2
	v_bfe_u32 v2, v1, 16, 1
	v_add_f32_e32 v3, v75, v99
	v_cndmask_b32_e64 v88, v88, v89, s[4:5]
	v_add3_u32 v2, v2, v1, s16
	v_or_b32_e32 v89, 0x400000, v1
	v_cmp_u_f32_e64 s[4:5], v1, v1
	v_cndmask_b32_e64 v1, v2, v89, s[4:5]
	v_mul_f32_e32 v2, s33, v3
	v_add_f32_e32 v4, v76, v100
	v_bfe_u32 v3, v2, 16, 1
	v_add3_u32 v3, v3, v2, s16
	v_or_b32_e32 v89, 0x400000, v2
	v_cmp_u_f32_e64 s[4:5], v2, v2
	v_mul_f32_e32 v2, s33, v4
	v_cndmask_b32_e64 v89, v3, v89, s[4:5]
	v_bfe_u32 v3, v2, 16, 1
	v_add_f32_e32 v5, v77, v101
	v_add3_u32 v3, v3, v2, s16
	v_or_b32_e32 v4, 0x400000, v2
	v_cmp_u_f32_e64 s[4:5], v2, v2
	v_cndmask_b32_e64 v2, v3, v4, s[4:5]
	v_mul_f32_e32 v3, s33, v5
	v_add_f32_e32 v6, v78, v102
	v_bfe_u32 v4, v3, 16, 1
	v_add3_u32 v4, v4, v3, s16
	v_or_b32_e32 v5, 0x400000, v3
	v_cmp_u_f32_e64 s[4:5], v3, v3
	v_mul_f32_e32 v3, s33, v6
	v_cndmask_b32_e64 v4, v4, v5, s[4:5]
	v_bfe_u32 v5, v3, 16, 1
	v_add_f32_e32 v7, v79, v103
	v_add3_u32 v5, v5, v3, s16
	v_or_b32_e32 v6, 0x400000, v3
	v_cmp_u_f32_e64 s[4:5], v3, v3
	v_cndmask_b32_e64 v3, v5, v6, s[4:5]
	v_mul_f32_e32 v5, s33, v7
	v_bfe_u32 v6, v5, 16, 1
	v_add3_u32 v6, v6, v5, s16
	v_or_b32_e32 v7, 0x400000, v5
	v_cmp_u_f32_e64 s[4:5], v5, v5
	v_cndmask_b32_e64 v5, v6, v7, s[4:5]
	s_mov_b32 s4, 0x7060302
	v_perm_b32 v2, v4, v2, s4
	buffer_load_dword v4, off, s[48:51], 0 offset:48 ; 4-byte Folded Reload
	v_perm_b32 v3, v5, v3, s4
	v_perm_b32 v1, v89, v1, s4
	;; [unrolled: 1-line block ×3, first 2 shown]
	s_waitcnt vmcnt(0)
	global_store_dwordx4 v4, v[0:3], s[6:7]
.LBB38_46:
	s_or_b64 exec, exec, s[18:19]
	v_sub_f32_e32 v88, v120, v144
	v_sub_f32_e32 v92, v121, v145
	;; [unrolled: 1-line block ×16, first 2 shown]
	s_and_saveexec_b64 s[16:17], s[14:15]
	s_cbranch_execnz .LBB38_56
; %bb.47:
	s_or_b64 exec, exec, s[16:17]
	s_and_saveexec_b64 s[14:15], s[12:13]
	s_cbranch_execnz .LBB38_57
.LBB38_48:
	s_or_b64 exec, exec, s[14:15]
	s_and_saveexec_b64 s[12:13], s[10:11]
	s_cbranch_execnz .LBB38_58
.LBB38_49:
	s_or_b64 exec, exec, s[12:13]
	s_and_saveexec_b64 s[10:11], s[8:9]
	s_cbranch_execnz .LBB38_59
.LBB38_50:
	s_or_b64 exec, exec, s[10:11]
	s_and_saveexec_b64 s[8:9], s[38:39]
	s_cbranch_execnz .LBB38_60
.LBB38_51:
	s_or_b64 exec, exec, s[8:9]
	s_and_saveexec_b64 s[8:9], s[36:37]
	s_cbranch_execnz .LBB38_61
.LBB38_52:
	s_or_b64 exec, exec, s[8:9]
	s_and_saveexec_b64 s[4:5], s[2:3]
	s_cbranch_execnz .LBB38_62
.LBB38_53:
	s_or_b64 exec, exec, s[4:5]
	s_and_saveexec_b64 s[2:3], s[0:1]
	s_cbranch_execnz .LBB38_63
.LBB38_54:
	s_or_b64 exec, exec, s[2:3]
	s_and_saveexec_b64 s[0:1], vcc
	s_cbranch_execnz .LBB38_64
.LBB38_55:
	s_endpgm
.LBB38_56:
	v_add_f32_e32 v0, v92, v108
	v_mul_f32_e32 v0, s33, v0
	v_add_f32_e32 v1, v88, v104
	v_bfe_u32 v112, v0, 16, 1
	s_movk_i32 s14, 0x7fff
	v_add3_u32 v112, v112, v0, s14
	v_or_b32_e32 v113, 0x400000, v0
	v_cmp_u_f32_e64 s[4:5], v0, v0
	v_mul_f32_e32 v1, s33, v1
	v_add_f32_e32 v2, v93, v109
	v_cndmask_b32_e64 v0, v112, v113, s[4:5]
	v_bfe_u32 v112, v1, 16, 1
	v_add3_u32 v112, v112, v1, s14
	v_or_b32_e32 v113, 0x400000, v1
	v_cmp_u_f32_e64 s[4:5], v1, v1
	v_mul_f32_e32 v1, s33, v2
	v_bfe_u32 v2, v1, 16, 1
	v_add_f32_e32 v3, v89, v105
	v_cndmask_b32_e64 v112, v112, v113, s[4:5]
	v_add3_u32 v2, v2, v1, s14
	v_or_b32_e32 v113, 0x400000, v1
	v_cmp_u_f32_e64 s[4:5], v1, v1
	v_cndmask_b32_e64 v1, v2, v113, s[4:5]
	v_mul_f32_e32 v2, s33, v3
	v_add_f32_e32 v4, v94, v110
	v_bfe_u32 v3, v2, 16, 1
	v_add3_u32 v3, v3, v2, s14
	v_or_b32_e32 v113, 0x400000, v2
	v_cmp_u_f32_e64 s[4:5], v2, v2
	v_mul_f32_e32 v2, s33, v4
	v_cndmask_b32_e64 v113, v3, v113, s[4:5]
	v_bfe_u32 v3, v2, 16, 1
	v_add_f32_e32 v5, v90, v106
	v_add3_u32 v3, v3, v2, s14
	v_or_b32_e32 v4, 0x400000, v2
	v_cmp_u_f32_e64 s[4:5], v2, v2
	v_cndmask_b32_e64 v2, v3, v4, s[4:5]
	v_mul_f32_e32 v3, s33, v5
	v_add_f32_e32 v6, v95, v111
	v_bfe_u32 v4, v3, 16, 1
	v_add3_u32 v4, v4, v3, s14
	v_or_b32_e32 v5, 0x400000, v3
	v_cmp_u_f32_e64 s[4:5], v3, v3
	v_mul_f32_e32 v3, s33, v6
	v_cndmask_b32_e64 v4, v4, v5, s[4:5]
	v_bfe_u32 v5, v3, 16, 1
	v_add_f32_e32 v7, v91, v107
	v_add3_u32 v5, v5, v3, s14
	v_or_b32_e32 v6, 0x400000, v3
	v_cmp_u_f32_e64 s[4:5], v3, v3
	v_cndmask_b32_e64 v3, v5, v6, s[4:5]
	v_mul_f32_e32 v5, s33, v7
	v_bfe_u32 v6, v5, 16, 1
	v_add3_u32 v6, v6, v5, s14
	v_or_b32_e32 v7, 0x400000, v5
	v_cmp_u_f32_e64 s[4:5], v5, v5
	v_cndmask_b32_e64 v5, v6, v7, s[4:5]
	s_mov_b32 s4, 0x7060302
	v_perm_b32 v2, v4, v2, s4
	buffer_load_dword v4, off, s[48:51], 0 offset:44 ; 4-byte Folded Reload
	v_perm_b32 v3, v5, v3, s4
	v_perm_b32 v1, v113, v1, s4
	;; [unrolled: 1-line block ×3, first 2 shown]
	s_waitcnt vmcnt(0)
	global_store_dwordx4 v4, v[0:3], s[6:7]
	s_or_b64 exec, exec, s[16:17]
	s_and_saveexec_b64 s[14:15], s[12:13]
	s_cbranch_execz .LBB38_48
.LBB38_57:
	buffer_load_dword v0, off, s[48:51], 0 offset:72 ; 4-byte Folded Reload
	buffer_load_dword v1, off, s[48:51], 0 offset:104 ; 4-byte Folded Reload
	s_movk_i32 s12, 0x7fff
	s_waitcnt vmcnt(0)
	v_sub_f32_e32 v0, v0, v1
	buffer_load_dword v1, off, s[48:51], 0 offset:76 ; 4-byte Folded Reload
	buffer_load_dword v2, off, s[48:51], 0 offset:108 ; 4-byte Folded Reload
	v_mul_f32_e32 v0, s33, v0
	v_or_b32_e32 v113, 0x400000, v0
	v_cmp_u_f32_e64 s[4:5], v0, v0
	s_waitcnt vmcnt(0)
	v_sub_f32_e32 v1, v1, v2
	buffer_load_dword v2, off, s[48:51], 0 offset:80 ; 4-byte Folded Reload
	buffer_load_dword v3, off, s[48:51], 0 offset:112 ; 4-byte Folded Reload
	v_mul_f32_e32 v1, s33, v1
	s_waitcnt vmcnt(0)
	v_sub_f32_e32 v2, v2, v3
	buffer_load_dword v3, off, s[48:51], 0 offset:84 ; 4-byte Folded Reload
	buffer_load_dword v4, off, s[48:51], 0 offset:116 ; 4-byte Folded Reload
	s_waitcnt vmcnt(0)
	v_sub_f32_e32 v3, v3, v4
	buffer_load_dword v4, off, s[48:51], 0 offset:88 ; 4-byte Folded Reload
	buffer_load_dword v5, off, s[48:51], 0 offset:120 ; 4-byte Folded Reload
	;; [unrolled: 4-line block ×5, first 2 shown]
	s_waitcnt vmcnt(0)
	v_sub_f32_e32 v7, v7, v112
	v_bfe_u32 v112, v0, 16, 1
	v_add3_u32 v112, v112, v0, s12
	v_cndmask_b32_e64 v0, v112, v113, s[4:5]
	v_bfe_u32 v112, v1, 16, 1
	v_add3_u32 v112, v112, v1, s12
	v_or_b32_e32 v113, 0x400000, v1
	v_cmp_u_f32_e64 s[4:5], v1, v1
	v_mul_f32_e32 v1, s33, v2
	v_bfe_u32 v2, v1, 16, 1
	v_cndmask_b32_e64 v112, v112, v113, s[4:5]
	v_add3_u32 v2, v2, v1, s12
	v_or_b32_e32 v113, 0x400000, v1
	v_cmp_u_f32_e64 s[4:5], v1, v1
	v_cndmask_b32_e64 v1, v2, v113, s[4:5]
	v_mul_f32_e32 v2, s33, v3
	v_bfe_u32 v3, v2, 16, 1
	v_add3_u32 v3, v3, v2, s12
	v_or_b32_e32 v113, 0x400000, v2
	v_cmp_u_f32_e64 s[4:5], v2, v2
	v_mul_f32_e32 v2, s33, v4
	v_cndmask_b32_e64 v113, v3, v113, s[4:5]
	v_bfe_u32 v3, v2, 16, 1
	v_add3_u32 v3, v3, v2, s12
	v_or_b32_e32 v4, 0x400000, v2
	v_cmp_u_f32_e64 s[4:5], v2, v2
	v_cndmask_b32_e64 v2, v3, v4, s[4:5]
	v_mul_f32_e32 v3, s33, v5
	v_bfe_u32 v4, v3, 16, 1
	v_add3_u32 v4, v4, v3, s12
	v_or_b32_e32 v5, 0x400000, v3
	v_cmp_u_f32_e64 s[4:5], v3, v3
	v_mul_f32_e32 v3, s33, v6
	v_cndmask_b32_e64 v4, v4, v5, s[4:5]
	v_bfe_u32 v5, v3, 16, 1
	v_add3_u32 v5, v5, v3, s12
	v_or_b32_e32 v6, 0x400000, v3
	v_cmp_u_f32_e64 s[4:5], v3, v3
	v_cndmask_b32_e64 v3, v5, v6, s[4:5]
	v_mul_f32_e32 v5, s33, v7
	v_bfe_u32 v6, v5, 16, 1
	v_add3_u32 v6, v6, v5, s12
	v_or_b32_e32 v7, 0x400000, v5
	v_cmp_u_f32_e64 s[4:5], v5, v5
	v_cndmask_b32_e64 v5, v6, v7, s[4:5]
	s_mov_b32 s4, 0x7060302
	v_perm_b32 v2, v4, v2, s4
	buffer_load_dword v4, off, s[48:51], 0 offset:40 ; 4-byte Folded Reload
	v_perm_b32 v3, v5, v3, s4
	v_perm_b32 v1, v113, v1, s4
	v_perm_b32 v0, v112, v0, s4
	s_waitcnt vmcnt(0)
	global_store_dwordx4 v4, v[0:3], s[6:7]
	s_or_b64 exec, exec, s[14:15]
	s_and_saveexec_b64 s[12:13], s[10:11]
	s_cbranch_execz .LBB38_49
.LBB38_58:
	buffer_load_dword v0, off, s[48:51], 0 offset:136 ; 4-byte Folded Reload
	buffer_load_dword v1, off, s[48:51], 0 offset:140 ; 4-byte Folded Reload
	;; [unrolled: 1-line block ×8, first 2 shown]
	s_movk_i32 s10, 0x7fff
	s_waitcnt vmcnt(7)
	v_sub_f32_e32 v0, v0, v8
	v_mul_f32_e32 v0, s33, v0
	s_waitcnt vmcnt(6)
	v_sub_f32_e32 v1, v1, v9
	v_bfe_u32 v8, v0, 16, 1
	v_add3_u32 v8, v8, v0, s10
	v_or_b32_e32 v9, 0x400000, v0
	v_cmp_u_f32_e64 s[4:5], v0, v0
	v_mul_f32_e32 v1, s33, v1
	s_waitcnt vmcnt(5)
	v_sub_f32_e32 v2, v2, v10
	v_cndmask_b32_e64 v0, v8, v9, s[4:5]
	v_bfe_u32 v8, v1, 16, 1
	v_add3_u32 v8, v8, v1, s10
	v_or_b32_e32 v9, 0x400000, v1
	v_cmp_u_f32_e64 s[4:5], v1, v1
	v_mul_f32_e32 v1, s33, v2
	v_bfe_u32 v2, v1, 16, 1
	s_waitcnt vmcnt(4)
	v_sub_f32_e32 v3, v3, v11
	v_cndmask_b32_e64 v8, v8, v9, s[4:5]
	v_add3_u32 v2, v2, v1, s10
	v_or_b32_e32 v9, 0x400000, v1
	v_cmp_u_f32_e64 s[4:5], v1, v1
	v_cndmask_b32_e64 v1, v2, v9, s[4:5]
	v_mul_f32_e32 v2, s33, v3
	s_waitcnt vmcnt(3)
	v_sub_f32_e32 v4, v4, v12
	v_bfe_u32 v3, v2, 16, 1
	v_add3_u32 v3, v3, v2, s10
	v_or_b32_e32 v9, 0x400000, v2
	v_cmp_u_f32_e64 s[4:5], v2, v2
	v_mul_f32_e32 v2, s33, v4
	v_cndmask_b32_e64 v9, v3, v9, s[4:5]
	v_bfe_u32 v3, v2, 16, 1
	s_waitcnt vmcnt(2)
	v_sub_f32_e32 v5, v5, v13
	v_add3_u32 v3, v3, v2, s10
	v_or_b32_e32 v4, 0x400000, v2
	v_cmp_u_f32_e64 s[4:5], v2, v2
	v_cndmask_b32_e64 v2, v3, v4, s[4:5]
	v_mul_f32_e32 v3, s33, v5
	s_waitcnt vmcnt(1)
	v_sub_f32_e32 v6, v6, v14
	v_bfe_u32 v4, v3, 16, 1
	v_add3_u32 v4, v4, v3, s10
	v_or_b32_e32 v5, 0x400000, v3
	v_cmp_u_f32_e64 s[4:5], v3, v3
	v_mul_f32_e32 v3, s33, v6
	v_cndmask_b32_e64 v4, v4, v5, s[4:5]
	v_bfe_u32 v5, v3, 16, 1
	s_waitcnt vmcnt(0)
	v_sub_f32_e32 v7, v7, v15
	v_add3_u32 v5, v5, v3, s10
	v_or_b32_e32 v6, 0x400000, v3
	v_cmp_u_f32_e64 s[4:5], v3, v3
	v_cndmask_b32_e64 v3, v5, v6, s[4:5]
	v_mul_f32_e32 v5, s33, v7
	v_bfe_u32 v6, v5, 16, 1
	v_add3_u32 v6, v6, v5, s10
	v_or_b32_e32 v7, 0x400000, v5
	v_cmp_u_f32_e64 s[4:5], v5, v5
	v_cndmask_b32_e64 v5, v6, v7, s[4:5]
	s_mov_b32 s4, 0x7060302
	v_perm_b32 v2, v4, v2, s4
	buffer_load_dword v4, off, s[48:51], 0 offset:36 ; 4-byte Folded Reload
	v_perm_b32 v3, v5, v3, s4
	v_perm_b32 v1, v9, v1, s4
	;; [unrolled: 1-line block ×3, first 2 shown]
	s_waitcnt vmcnt(0)
	global_store_dwordx4 v4, v[0:3], s[6:7]
	s_or_b64 exec, exec, s[12:13]
	s_and_saveexec_b64 s[10:11], s[8:9]
	s_cbranch_execz .LBB38_50
.LBB38_59:
	v_sub_f32_e32 v0, v16, v24
	v_mul_f32_e32 v0, s33, v0
	v_sub_f32_e32 v1, v17, v25
	v_bfe_u32 v8, v0, 16, 1
	s_movk_i32 s8, 0x7fff
	v_add3_u32 v8, v8, v0, s8
	v_or_b32_e32 v9, 0x400000, v0
	v_cmp_u_f32_e64 s[4:5], v0, v0
	v_mul_f32_e32 v1, s33, v1
	v_sub_f32_e32 v2, v18, v26
	v_cndmask_b32_e64 v0, v8, v9, s[4:5]
	v_bfe_u32 v8, v1, 16, 1
	v_add3_u32 v8, v8, v1, s8
	v_or_b32_e32 v9, 0x400000, v1
	v_cmp_u_f32_e64 s[4:5], v1, v1
	v_mul_f32_e32 v1, s33, v2
	v_bfe_u32 v2, v1, 16, 1
	v_sub_f32_e32 v3, v19, v27
	v_cndmask_b32_e64 v8, v8, v9, s[4:5]
	v_add3_u32 v2, v2, v1, s8
	v_or_b32_e32 v9, 0x400000, v1
	v_cmp_u_f32_e64 s[4:5], v1, v1
	v_cndmask_b32_e64 v1, v2, v9, s[4:5]
	v_mul_f32_e32 v2, s33, v3
	v_sub_f32_e32 v4, v20, v28
	v_bfe_u32 v3, v2, 16, 1
	v_add3_u32 v3, v3, v2, s8
	v_or_b32_e32 v9, 0x400000, v2
	v_cmp_u_f32_e64 s[4:5], v2, v2
	v_mul_f32_e32 v2, s33, v4
	v_cndmask_b32_e64 v9, v3, v9, s[4:5]
	v_bfe_u32 v3, v2, 16, 1
	v_sub_f32_e32 v5, v21, v29
	v_add3_u32 v3, v3, v2, s8
	v_or_b32_e32 v4, 0x400000, v2
	v_cmp_u_f32_e64 s[4:5], v2, v2
	v_cndmask_b32_e64 v2, v3, v4, s[4:5]
	v_mul_f32_e32 v3, s33, v5
	v_sub_f32_e32 v6, v22, v30
	v_bfe_u32 v4, v3, 16, 1
	v_add3_u32 v4, v4, v3, s8
	v_or_b32_e32 v5, 0x400000, v3
	v_cmp_u_f32_e64 s[4:5], v3, v3
	v_mul_f32_e32 v3, s33, v6
	v_cndmask_b32_e64 v4, v4, v5, s[4:5]
	v_bfe_u32 v5, v3, 16, 1
	v_sub_f32_e32 v7, v23, v31
	v_add3_u32 v5, v5, v3, s8
	v_or_b32_e32 v6, 0x400000, v3
	v_cmp_u_f32_e64 s[4:5], v3, v3
	v_cndmask_b32_e64 v3, v5, v6, s[4:5]
	v_mul_f32_e32 v5, s33, v7
	v_bfe_u32 v6, v5, 16, 1
	v_add3_u32 v6, v6, v5, s8
	v_or_b32_e32 v7, 0x400000, v5
	v_cmp_u_f32_e64 s[4:5], v5, v5
	v_cndmask_b32_e64 v5, v6, v7, s[4:5]
	s_mov_b32 s4, 0x7060302
	v_perm_b32 v2, v4, v2, s4
	buffer_load_dword v4, off, s[48:51], 0 offset:32 ; 4-byte Folded Reload
	v_perm_b32 v3, v5, v3, s4
	v_perm_b32 v1, v9, v1, s4
	;; [unrolled: 1-line block ×3, first 2 shown]
	s_waitcnt vmcnt(0)
	global_store_dwordx4 v4, v[0:3], s[6:7]
	s_or_b64 exec, exec, s[10:11]
	s_and_saveexec_b64 s[8:9], s[38:39]
	s_cbranch_execz .LBB38_51
.LBB38_60:
	v_sub_f32_e32 v0, v32, v40
	v_mul_f32_e32 v0, s33, v0
	v_sub_f32_e32 v1, v33, v41
	v_bfe_u32 v8, v0, 16, 1
	s_movk_i32 s10, 0x7fff
	v_add3_u32 v8, v8, v0, s10
	v_or_b32_e32 v9, 0x400000, v0
	v_cmp_u_f32_e64 s[4:5], v0, v0
	v_mul_f32_e32 v1, s33, v1
	v_sub_f32_e32 v2, v34, v42
	v_cndmask_b32_e64 v0, v8, v9, s[4:5]
	v_bfe_u32 v8, v1, 16, 1
	v_add3_u32 v8, v8, v1, s10
	v_or_b32_e32 v9, 0x400000, v1
	v_cmp_u_f32_e64 s[4:5], v1, v1
	v_mul_f32_e32 v1, s33, v2
	v_bfe_u32 v2, v1, 16, 1
	v_sub_f32_e32 v3, v35, v43
	v_cndmask_b32_e64 v8, v8, v9, s[4:5]
	v_add3_u32 v2, v2, v1, s10
	v_or_b32_e32 v9, 0x400000, v1
	v_cmp_u_f32_e64 s[4:5], v1, v1
	v_cndmask_b32_e64 v1, v2, v9, s[4:5]
	v_mul_f32_e32 v2, s33, v3
	v_sub_f32_e32 v4, v36, v44
	v_bfe_u32 v3, v2, 16, 1
	v_add3_u32 v3, v3, v2, s10
	v_or_b32_e32 v9, 0x400000, v2
	v_cmp_u_f32_e64 s[4:5], v2, v2
	v_mul_f32_e32 v2, s33, v4
	v_cndmask_b32_e64 v9, v3, v9, s[4:5]
	v_bfe_u32 v3, v2, 16, 1
	v_sub_f32_e32 v5, v37, v45
	v_add3_u32 v3, v3, v2, s10
	v_or_b32_e32 v4, 0x400000, v2
	v_cmp_u_f32_e64 s[4:5], v2, v2
	v_cndmask_b32_e64 v2, v3, v4, s[4:5]
	v_mul_f32_e32 v3, s33, v5
	v_sub_f32_e32 v6, v38, v46
	v_bfe_u32 v4, v3, 16, 1
	v_add3_u32 v4, v4, v3, s10
	v_or_b32_e32 v5, 0x400000, v3
	v_cmp_u_f32_e64 s[4:5], v3, v3
	v_mul_f32_e32 v3, s33, v6
	v_cndmask_b32_e64 v4, v4, v5, s[4:5]
	v_bfe_u32 v5, v3, 16, 1
	v_sub_f32_e32 v7, v39, v47
	v_add3_u32 v5, v5, v3, s10
	v_or_b32_e32 v6, 0x400000, v3
	v_cmp_u_f32_e64 s[4:5], v3, v3
	v_cndmask_b32_e64 v3, v5, v6, s[4:5]
	v_mul_f32_e32 v5, s33, v7
	v_bfe_u32 v6, v5, 16, 1
	v_add3_u32 v6, v6, v5, s10
	v_or_b32_e32 v7, 0x400000, v5
	v_cmp_u_f32_e64 s[4:5], v5, v5
	v_cndmask_b32_e64 v5, v6, v7, s[4:5]
	s_mov_b32 s4, 0x7060302
	v_perm_b32 v2, v4, v2, s4
	buffer_load_dword v4, off, s[48:51], 0 offset:28 ; 4-byte Folded Reload
	v_perm_b32 v3, v5, v3, s4
	v_perm_b32 v1, v9, v1, s4
	;; [unrolled: 1-line block ×3, first 2 shown]
	s_waitcnt vmcnt(0)
	global_store_dwordx4 v4, v[0:3], s[6:7]
	s_or_b64 exec, exec, s[8:9]
	s_and_saveexec_b64 s[8:9], s[36:37]
	s_cbranch_execz .LBB38_52
.LBB38_61:
	v_sub_f32_e32 v0, v48, v56
	v_mul_f32_e32 v0, s33, v0
	v_sub_f32_e32 v1, v49, v57
	v_bfe_u32 v8, v0, 16, 1
	s_movk_i32 s10, 0x7fff
	v_add3_u32 v8, v8, v0, s10
	v_or_b32_e32 v9, 0x400000, v0
	v_cmp_u_f32_e64 s[4:5], v0, v0
	v_mul_f32_e32 v1, s33, v1
	v_sub_f32_e32 v2, v50, v58
	v_cndmask_b32_e64 v0, v8, v9, s[4:5]
	v_bfe_u32 v8, v1, 16, 1
	v_add3_u32 v8, v8, v1, s10
	v_or_b32_e32 v9, 0x400000, v1
	v_cmp_u_f32_e64 s[4:5], v1, v1
	v_mul_f32_e32 v1, s33, v2
	v_bfe_u32 v2, v1, 16, 1
	v_sub_f32_e32 v3, v51, v59
	v_cndmask_b32_e64 v8, v8, v9, s[4:5]
	v_add3_u32 v2, v2, v1, s10
	v_or_b32_e32 v9, 0x400000, v1
	v_cmp_u_f32_e64 s[4:5], v1, v1
	v_cndmask_b32_e64 v1, v2, v9, s[4:5]
	v_mul_f32_e32 v2, s33, v3
	v_sub_f32_e32 v4, v52, v60
	v_bfe_u32 v3, v2, 16, 1
	v_add3_u32 v3, v3, v2, s10
	v_or_b32_e32 v9, 0x400000, v2
	v_cmp_u_f32_e64 s[4:5], v2, v2
	v_mul_f32_e32 v2, s33, v4
	v_cndmask_b32_e64 v9, v3, v9, s[4:5]
	v_bfe_u32 v3, v2, 16, 1
	v_sub_f32_e32 v5, v53, v61
	v_add3_u32 v3, v3, v2, s10
	v_or_b32_e32 v4, 0x400000, v2
	v_cmp_u_f32_e64 s[4:5], v2, v2
	v_cndmask_b32_e64 v2, v3, v4, s[4:5]
	v_mul_f32_e32 v3, s33, v5
	v_sub_f32_e32 v6, v54, v62
	v_bfe_u32 v4, v3, 16, 1
	v_add3_u32 v4, v4, v3, s10
	v_or_b32_e32 v5, 0x400000, v3
	v_cmp_u_f32_e64 s[4:5], v3, v3
	v_mul_f32_e32 v3, s33, v6
	v_cndmask_b32_e64 v4, v4, v5, s[4:5]
	v_bfe_u32 v5, v3, 16, 1
	v_sub_f32_e32 v7, v55, v63
	v_add3_u32 v5, v5, v3, s10
	v_or_b32_e32 v6, 0x400000, v3
	v_cmp_u_f32_e64 s[4:5], v3, v3
	v_cndmask_b32_e64 v3, v5, v6, s[4:5]
	v_mul_f32_e32 v5, s33, v7
	v_bfe_u32 v6, v5, 16, 1
	v_add3_u32 v6, v6, v5, s10
	v_or_b32_e32 v7, 0x400000, v5
	v_cmp_u_f32_e64 s[4:5], v5, v5
	v_cndmask_b32_e64 v5, v6, v7, s[4:5]
	s_mov_b32 s4, 0x7060302
	v_perm_b32 v2, v4, v2, s4
	buffer_load_dword v4, off, s[48:51], 0 offset:24 ; 4-byte Folded Reload
	v_perm_b32 v3, v5, v3, s4
	v_perm_b32 v1, v9, v1, s4
	;; [unrolled: 1-line block ×3, first 2 shown]
	s_waitcnt vmcnt(0)
	global_store_dwordx4 v4, v[0:3], s[6:7]
	s_or_b64 exec, exec, s[8:9]
	s_and_saveexec_b64 s[4:5], s[2:3]
	s_cbranch_execz .LBB38_53
.LBB38_62:
	v_sub_f32_e32 v0, v64, v80
	v_mul_f32_e32 v0, s33, v0
	v_sub_f32_e32 v1, v65, v81
	v_bfe_u32 v8, v0, 16, 1
	s_movk_i32 s8, 0x7fff
	v_add3_u32 v8, v8, v0, s8
	v_or_b32_e32 v9, 0x400000, v0
	v_cmp_u_f32_e64 s[2:3], v0, v0
	v_mul_f32_e32 v0, s33, v1
	v_sub_f32_e32 v2, v66, v82
	v_bfe_u32 v1, v0, 16, 1
	v_cndmask_b32_e64 v8, v8, v9, s[2:3]
	v_add3_u32 v1, v1, v0, s8
	v_or_b32_e32 v9, 0x400000, v0
	v_cmp_u_f32_e64 s[2:3], v0, v0
	v_mul_f32_e32 v0, s33, v2
	v_sub_f32_e32 v3, v67, v83
	v_cndmask_b32_e64 v9, v1, v9, s[2:3]
	v_bfe_u32 v1, v0, 16, 1
	v_add3_u32 v1, v1, v0, s8
	v_or_b32_e32 v2, 0x400000, v0
	v_cmp_u_f32_e64 s[2:3], v0, v0
	v_mul_f32_e32 v0, s33, v3
	v_sub_f32_e32 v4, v68, v84
	v_cndmask_b32_e64 v10, v1, v2, s[2:3]
	v_bfe_u32 v1, v0, 16, 1
	;; [unrolled: 7-line block ×5, first 2 shown]
	v_add3_u32 v1, v1, v0, s8
	v_or_b32_e32 v3, 0x400000, v0
	v_cmp_u_f32_e64 s[2:3], v0, v0
	v_mul_f32_e32 v0, s33, v7
	v_cndmask_b32_e64 v3, v1, v3, s[2:3]
	v_bfe_u32 v1, v0, 16, 1
	v_add3_u32 v1, v1, v0, s8
	v_or_b32_e32 v4, 0x400000, v0
	v_cmp_u_f32_e64 s[2:3], v0, v0
	v_cndmask_b32_e64 v6, v1, v4, s[2:3]
	buffer_load_dword v0, off, s[48:51], 0 offset:16 ; 4-byte Folded Reload
	buffer_load_dword v1, off, s[48:51], 0 offset:20 ; 4-byte Folded Reload
	s_waitcnt vmcnt(0)
	v_mov_b32_e32 v1, 0
	v_mov_b32_e32 v5, s7
	v_lshlrev_b64 v[0:1], 4, v[0:1]
	v_add_co_u32_e64 v4, s[2:3], s6, v0
	v_addc_co_u32_e64 v5, s[2:3], v5, v1, s[2:3]
	s_mov_b32 s2, 0x7060302
	v_perm_b32 v3, v6, v3, s2
	v_perm_b32 v2, v12, v2, s2
	;; [unrolled: 1-line block ×4, first 2 shown]
	global_store_dwordx4 v[4:5], v[0:3], off
	s_or_b64 exec, exec, s[4:5]
	s_and_saveexec_b64 s[2:3], s[0:1]
	s_cbranch_execz .LBB38_54
.LBB38_63:
	v_sub_f32_e32 v0, v72, v96
	v_mul_f32_e32 v0, s33, v0
	v_sub_f32_e32 v1, v73, v97
	v_bfe_u32 v8, v0, 16, 1
	s_movk_i32 s4, 0x7fff
	v_add3_u32 v8, v8, v0, s4
	v_or_b32_e32 v9, 0x400000, v0
	v_cmp_u_f32_e64 s[0:1], v0, v0
	v_mul_f32_e32 v0, s33, v1
	v_sub_f32_e32 v2, v74, v98
	v_bfe_u32 v1, v0, 16, 1
	v_cndmask_b32_e64 v8, v8, v9, s[0:1]
	v_add3_u32 v1, v1, v0, s4
	v_or_b32_e32 v9, 0x400000, v0
	v_cmp_u_f32_e64 s[0:1], v0, v0
	v_mul_f32_e32 v0, s33, v2
	v_sub_f32_e32 v3, v75, v99
	v_cndmask_b32_e64 v9, v1, v9, s[0:1]
	v_bfe_u32 v1, v0, 16, 1
	v_add3_u32 v1, v1, v0, s4
	v_or_b32_e32 v2, 0x400000, v0
	v_cmp_u_f32_e64 s[0:1], v0, v0
	v_mul_f32_e32 v0, s33, v3
	v_sub_f32_e32 v4, v76, v100
	v_cndmask_b32_e64 v10, v1, v2, s[0:1]
	v_bfe_u32 v1, v0, 16, 1
	v_add3_u32 v1, v1, v0, s4
	v_or_b32_e32 v2, 0x400000, v0
	v_cmp_u_f32_e64 s[0:1], v0, v0
	v_mul_f32_e32 v0, s33, v4
	v_sub_f32_e32 v5, v77, v101
	v_cndmask_b32_e64 v11, v1, v2, s[0:1]
	v_bfe_u32 v1, v0, 16, 1
	v_add3_u32 v1, v1, v0, s4
	v_or_b32_e32 v2, 0x400000, v0
	v_cmp_u_f32_e64 s[0:1], v0, v0
	v_mul_f32_e32 v0, s33, v5
	v_sub_f32_e32 v6, v78, v102
	v_cndmask_b32_e64 v2, v1, v2, s[0:1]
	v_bfe_u32 v1, v0, 16, 1
	v_add3_u32 v1, v1, v0, s4
	v_or_b32_e32 v3, 0x400000, v0
	v_cmp_u_f32_e64 s[0:1], v0, v0
	v_mul_f32_e32 v0, s33, v6
	v_sub_f32_e32 v7, v79, v103
	v_cndmask_b32_e64 v12, v1, v3, s[0:1]
	v_bfe_u32 v1, v0, 16, 1
	v_add3_u32 v1, v1, v0, s4
	v_or_b32_e32 v3, 0x400000, v0
	v_cmp_u_f32_e64 s[0:1], v0, v0
	v_mul_f32_e32 v0, s33, v7
	v_cndmask_b32_e64 v3, v1, v3, s[0:1]
	v_bfe_u32 v1, v0, 16, 1
	v_add3_u32 v1, v1, v0, s4
	v_or_b32_e32 v4, 0x400000, v0
	v_cmp_u_f32_e64 s[0:1], v0, v0
	v_cndmask_b32_e64 v6, v1, v4, s[0:1]
	buffer_load_dword v0, off, s[48:51], 0 offset:8 ; 4-byte Folded Reload
	buffer_load_dword v1, off, s[48:51], 0 offset:12 ; 4-byte Folded Reload
	s_waitcnt vmcnt(0)
	v_mov_b32_e32 v1, 0
	v_mov_b32_e32 v5, s7
	v_lshlrev_b64 v[0:1], 4, v[0:1]
	v_add_co_u32_e64 v4, s[0:1], s6, v0
	v_addc_co_u32_e64 v5, s[0:1], v5, v1, s[0:1]
	s_mov_b32 s0, 0x7060302
	v_perm_b32 v3, v6, v3, s0
	v_perm_b32 v2, v12, v2, s0
	;; [unrolled: 1-line block ×4, first 2 shown]
	global_store_dwordx4 v[4:5], v[0:3], off
	s_or_b64 exec, exec, s[2:3]
	s_and_saveexec_b64 s[0:1], vcc
	s_cbranch_execz .LBB38_55
.LBB38_64:
	v_sub_f32_e32 v0, v92, v108
	v_sub_f32_e32 v1, v88, v104
	v_mul_f32_e32 v0, s33, v0
	v_mul_f32_e32 v1, s33, v1
	v_bfe_u32 v8, v0, 16, 1
	s_movk_i32 s0, 0x7fff
	v_sub_f32_e32 v2, v93, v109
	v_add3_u32 v8, v8, v0, s0
	v_or_b32_e32 v9, 0x400000, v0
	v_cmp_u_f32_e32 vcc, v0, v0
	v_bfe_u32 v0, v1, 16, 1
	v_sub_f32_e32 v3, v89, v105
	v_cndmask_b32_e32 v8, v8, v9, vcc
	v_add3_u32 v0, v0, v1, s0
	v_or_b32_e32 v9, 0x400000, v1
	v_cmp_u_f32_e32 vcc, v1, v1
	v_mul_f32_e32 v1, s33, v2
	v_cndmask_b32_e32 v9, v0, v9, vcc
	v_mul_f32_e32 v0, s33, v3
	v_bfe_u32 v2, v1, 16, 1
	v_add3_u32 v2, v2, v1, s0
	v_or_b32_e32 v3, 0x400000, v1
	v_cmp_u_f32_e32 vcc, v1, v1
	v_bfe_u32 v1, v0, 16, 1
	v_sub_f32_e32 v4, v94, v110
	v_cndmask_b32_e32 v10, v2, v3, vcc
	v_add3_u32 v1, v1, v0, s0
	v_or_b32_e32 v2, 0x400000, v0
	v_cmp_u_f32_e32 vcc, v0, v0
	v_sub_f32_e32 v5, v90, v106
	v_cndmask_b32_e32 v11, v1, v2, vcc
	v_mul_f32_e32 v1, s33, v4
	v_mul_f32_e32 v0, s33, v5
	v_bfe_u32 v2, v1, 16, 1
	v_add3_u32 v2, v2, v1, s0
	v_or_b32_e32 v3, 0x400000, v1
	v_cmp_u_f32_e32 vcc, v1, v1
	v_bfe_u32 v1, v0, 16, 1
	v_sub_f32_e32 v6, v95, v111
	v_cndmask_b32_e32 v2, v2, v3, vcc
	v_add3_u32 v1, v1, v0, s0
	v_or_b32_e32 v3, 0x400000, v0
	v_cmp_u_f32_e32 vcc, v0, v0
	v_sub_f32_e32 v7, v91, v107
	v_cndmask_b32_e32 v12, v1, v3, vcc
	v_mul_f32_e32 v1, s33, v6
	v_mul_f32_e32 v0, s33, v7
	v_bfe_u32 v3, v1, 16, 1
	v_add3_u32 v3, v3, v1, s0
	v_or_b32_e32 v4, 0x400000, v1
	v_cmp_u_f32_e32 vcc, v1, v1
	v_bfe_u32 v1, v0, 16, 1
	v_cndmask_b32_e32 v3, v3, v4, vcc
	v_add3_u32 v1, v1, v0, s0
	v_or_b32_e32 v4, 0x400000, v0
	v_cmp_u_f32_e32 vcc, v0, v0
	v_cndmask_b32_e32 v6, v1, v4, vcc
	buffer_load_dword v0, off, s[48:51], 0  ; 4-byte Folded Reload
	buffer_load_dword v1, off, s[48:51], 0 offset:4 ; 4-byte Folded Reload
	s_waitcnt vmcnt(0)
	v_mov_b32_e32 v1, 0
	v_mov_b32_e32 v5, s7
	s_mov_b32 s0, 0x7060302
	v_perm_b32 v3, v6, v3, s0
	v_perm_b32 v2, v12, v2, s0
	v_lshlrev_b64 v[0:1], 4, v[0:1]
	v_add_co_u32_e32 v4, vcc, s6, v0
	v_addc_co_u32_e32 v5, vcc, v5, v1, vcc
	v_perm_b32 v1, v11, v10, s0
	v_perm_b32 v0, v9, v8, s0
	global_store_dwordx4 v[4:5], v[0:3], off
	s_endpgm
	.section	.rodata,"a",@progbits
	.p2align	6, 0x0
	.amdhsa_kernel _Z30fast_hadamard_transform_kernelI37fast_hadamard_transform_kernel_traitsILi256ELi15E14__hip_bfloat16EEv18HadamardParamsBase
		.amdhsa_group_segment_fixed_size 0
		.amdhsa_private_segment_fixed_size 172
		.amdhsa_kernarg_size 312
		.amdhsa_user_sgpr_count 6
		.amdhsa_user_sgpr_private_segment_buffer 1
		.amdhsa_user_sgpr_dispatch_ptr 0
		.amdhsa_user_sgpr_queue_ptr 0
		.amdhsa_user_sgpr_kernarg_segment_ptr 1
		.amdhsa_user_sgpr_dispatch_id 0
		.amdhsa_user_sgpr_flat_scratch_init 0
		.amdhsa_user_sgpr_private_segment_size 0
		.amdhsa_uses_dynamic_stack 0
		.amdhsa_system_sgpr_private_segment_wavefront_offset 1
		.amdhsa_system_sgpr_workgroup_id_x 1
		.amdhsa_system_sgpr_workgroup_id_y 0
		.amdhsa_system_sgpr_workgroup_id_z 0
		.amdhsa_system_sgpr_workgroup_info 0
		.amdhsa_system_vgpr_workitem_id 0
		.amdhsa_next_free_vgpr 256
		.amdhsa_next_free_sgpr 52
		.amdhsa_reserve_vcc 1
		.amdhsa_reserve_flat_scratch 0
		.amdhsa_float_round_mode_32 0
		.amdhsa_float_round_mode_16_64 0
		.amdhsa_float_denorm_mode_32 3
		.amdhsa_float_denorm_mode_16_64 3
		.amdhsa_dx10_clamp 1
		.amdhsa_ieee_mode 1
		.amdhsa_fp16_overflow 0
		.amdhsa_exception_fp_ieee_invalid_op 0
		.amdhsa_exception_fp_denorm_src 0
		.amdhsa_exception_fp_ieee_div_zero 0
		.amdhsa_exception_fp_ieee_overflow 0
		.amdhsa_exception_fp_ieee_underflow 0
		.amdhsa_exception_fp_ieee_inexact 0
		.amdhsa_exception_int_div_zero 0
	.end_amdhsa_kernel
	.section	.text._Z30fast_hadamard_transform_kernelI37fast_hadamard_transform_kernel_traitsILi256ELi15E14__hip_bfloat16EEv18HadamardParamsBase,"axG",@progbits,_Z30fast_hadamard_transform_kernelI37fast_hadamard_transform_kernel_traitsILi256ELi15E14__hip_bfloat16EEv18HadamardParamsBase,comdat
.Lfunc_end38:
	.size	_Z30fast_hadamard_transform_kernelI37fast_hadamard_transform_kernel_traitsILi256ELi15E14__hip_bfloat16EEv18HadamardParamsBase, .Lfunc_end38-_Z30fast_hadamard_transform_kernelI37fast_hadamard_transform_kernel_traitsILi256ELi15E14__hip_bfloat16EEv18HadamardParamsBase
                                        ; -- End function
	.set _Z30fast_hadamard_transform_kernelI37fast_hadamard_transform_kernel_traitsILi256ELi15E14__hip_bfloat16EEv18HadamardParamsBase.num_vgpr, 256
	.set _Z30fast_hadamard_transform_kernelI37fast_hadamard_transform_kernel_traitsILi256ELi15E14__hip_bfloat16EEv18HadamardParamsBase.num_agpr, 0
	.set _Z30fast_hadamard_transform_kernelI37fast_hadamard_transform_kernel_traitsILi256ELi15E14__hip_bfloat16EEv18HadamardParamsBase.numbered_sgpr, 52
	.set _Z30fast_hadamard_transform_kernelI37fast_hadamard_transform_kernel_traitsILi256ELi15E14__hip_bfloat16EEv18HadamardParamsBase.num_named_barrier, 0
	.set _Z30fast_hadamard_transform_kernelI37fast_hadamard_transform_kernel_traitsILi256ELi15E14__hip_bfloat16EEv18HadamardParamsBase.private_seg_size, 172
	.set _Z30fast_hadamard_transform_kernelI37fast_hadamard_transform_kernel_traitsILi256ELi15E14__hip_bfloat16EEv18HadamardParamsBase.uses_vcc, 1
	.set _Z30fast_hadamard_transform_kernelI37fast_hadamard_transform_kernel_traitsILi256ELi15E14__hip_bfloat16EEv18HadamardParamsBase.uses_flat_scratch, 0
	.set _Z30fast_hadamard_transform_kernelI37fast_hadamard_transform_kernel_traitsILi256ELi15E14__hip_bfloat16EEv18HadamardParamsBase.has_dyn_sized_stack, 0
	.set _Z30fast_hadamard_transform_kernelI37fast_hadamard_transform_kernel_traitsILi256ELi15E14__hip_bfloat16EEv18HadamardParamsBase.has_recursion, 0
	.set _Z30fast_hadamard_transform_kernelI37fast_hadamard_transform_kernel_traitsILi256ELi15E14__hip_bfloat16EEv18HadamardParamsBase.has_indirect_call, 0
	.section	.AMDGPU.csdata,"",@progbits
; Kernel info:
; codeLenInByte = 39528
; TotalNumSgprs: 56
; NumVgprs: 256
; ScratchSize: 172
; MemoryBound: 0
; FloatMode: 240
; IeeeMode: 1
; LDSByteSize: 0 bytes/workgroup (compile time only)
; SGPRBlocks: 6
; VGPRBlocks: 63
; NumSGPRsForWavesPerEU: 56
; NumVGPRsForWavesPerEU: 256
; Occupancy: 1
; WaveLimiterHint : 0
; COMPUTE_PGM_RSRC2:SCRATCH_EN: 1
; COMPUTE_PGM_RSRC2:USER_SGPR: 6
; COMPUTE_PGM_RSRC2:TRAP_HANDLER: 0
; COMPUTE_PGM_RSRC2:TGID_X_EN: 1
; COMPUTE_PGM_RSRC2:TGID_Y_EN: 0
; COMPUTE_PGM_RSRC2:TGID_Z_EN: 0
; COMPUTE_PGM_RSRC2:TIDIG_COMP_CNT: 0
	.section	.AMDGPU.gpr_maximums,"",@progbits
	.set amdgpu.max_num_vgpr, 0
	.set amdgpu.max_num_agpr, 0
	.set amdgpu.max_num_sgpr, 0
	.section	.AMDGPU.csdata,"",@progbits
	.type	__hip_cuid_798a86890a6167cd,@object ; @__hip_cuid_798a86890a6167cd
	.section	.bss,"aw",@nobits
	.globl	__hip_cuid_798a86890a6167cd
__hip_cuid_798a86890a6167cd:
	.byte	0                               ; 0x0
	.size	__hip_cuid_798a86890a6167cd, 1

	.ident	"AMD clang version 22.0.0git (https://github.com/RadeonOpenCompute/llvm-project roc-7.2.4 26084 f58b06dce1f9c15707c5f808fd002e18c2accf7e)"
	.section	".note.GNU-stack","",@progbits
	.addrsig
	.addrsig_sym __hip_cuid_798a86890a6167cd
	.amdgpu_metadata
---
amdhsa.kernels:
  - .args:
      - .offset:         0
        .size:           56
        .value_kind:     by_value
      - .offset:         56
        .size:           4
        .value_kind:     hidden_block_count_x
      - .offset:         60
        .size:           4
        .value_kind:     hidden_block_count_y
      - .offset:         64
        .size:           4
        .value_kind:     hidden_block_count_z
      - .offset:         68
        .size:           2
        .value_kind:     hidden_group_size_x
      - .offset:         70
        .size:           2
        .value_kind:     hidden_group_size_y
      - .offset:         72
        .size:           2
        .value_kind:     hidden_group_size_z
      - .offset:         74
        .size:           2
        .value_kind:     hidden_remainder_x
      - .offset:         76
        .size:           2
        .value_kind:     hidden_remainder_y
      - .offset:         78
        .size:           2
        .value_kind:     hidden_remainder_z
      - .offset:         96
        .size:           8
        .value_kind:     hidden_global_offset_x
      - .offset:         104
        .size:           8
        .value_kind:     hidden_global_offset_y
      - .offset:         112
        .size:           8
        .value_kind:     hidden_global_offset_z
      - .offset:         120
        .size:           2
        .value_kind:     hidden_grid_dims
    .group_segment_fixed_size: 0
    .kernarg_segment_align: 8
    .kernarg_segment_size: 312
    .language:       OpenCL C
    .language_version:
      - 2
      - 0
    .max_flat_workgroup_size: 1
    .name:           _Z30fast_hadamard_transform_kernelI37fast_hadamard_transform_kernel_traitsILi1ELi3EfEEv18HadamardParamsBase
    .private_segment_fixed_size: 0
    .sgpr_count:     27
    .sgpr_spill_count: 0
    .symbol:         _Z30fast_hadamard_transform_kernelI37fast_hadamard_transform_kernel_traitsILi1ELi3EfEEv18HadamardParamsBase.kd
    .uniform_work_group_size: 1
    .uses_dynamic_stack: false
    .vgpr_count:     14
    .vgpr_spill_count: 0
    .wavefront_size: 64
  - .args:
      - .offset:         0
        .size:           56
        .value_kind:     by_value
      - .offset:         56
        .size:           4
        .value_kind:     hidden_block_count_x
      - .offset:         60
        .size:           4
        .value_kind:     hidden_block_count_y
      - .offset:         64
        .size:           4
        .value_kind:     hidden_block_count_z
      - .offset:         68
        .size:           2
        .value_kind:     hidden_group_size_x
      - .offset:         70
        .size:           2
        .value_kind:     hidden_group_size_y
      - .offset:         72
        .size:           2
        .value_kind:     hidden_group_size_z
      - .offset:         74
        .size:           2
        .value_kind:     hidden_remainder_x
      - .offset:         76
        .size:           2
        .value_kind:     hidden_remainder_y
      - .offset:         78
        .size:           2
        .value_kind:     hidden_remainder_z
      - .offset:         96
        .size:           8
        .value_kind:     hidden_global_offset_x
      - .offset:         104
        .size:           8
        .value_kind:     hidden_global_offset_y
      - .offset:         112
        .size:           8
        .value_kind:     hidden_global_offset_z
      - .offset:         120
        .size:           2
        .value_kind:     hidden_grid_dims
    .group_segment_fixed_size: 0
    .kernarg_segment_align: 8
    .kernarg_segment_size: 312
    .language:       OpenCL C
    .language_version:
      - 2
      - 0
    .max_flat_workgroup_size: 2
    .name:           _Z30fast_hadamard_transform_kernelI37fast_hadamard_transform_kernel_traitsILi2ELi4EfEEv18HadamardParamsBase
    .private_segment_fixed_size: 0
    .sgpr_count:     21
    .sgpr_spill_count: 0
    .symbol:         _Z30fast_hadamard_transform_kernelI37fast_hadamard_transform_kernel_traitsILi2ELi4EfEEv18HadamardParamsBase.kd
    .uniform_work_group_size: 1
    .uses_dynamic_stack: false
    .vgpr_count:     16
    .vgpr_spill_count: 0
    .wavefront_size: 64
  - .args:
      - .offset:         0
        .size:           56
        .value_kind:     by_value
      - .offset:         56
        .size:           4
        .value_kind:     hidden_block_count_x
      - .offset:         60
        .size:           4
        .value_kind:     hidden_block_count_y
      - .offset:         64
        .size:           4
        .value_kind:     hidden_block_count_z
      - .offset:         68
        .size:           2
        .value_kind:     hidden_group_size_x
      - .offset:         70
        .size:           2
        .value_kind:     hidden_group_size_y
      - .offset:         72
        .size:           2
        .value_kind:     hidden_group_size_z
      - .offset:         74
        .size:           2
        .value_kind:     hidden_remainder_x
      - .offset:         76
        .size:           2
        .value_kind:     hidden_remainder_y
      - .offset:         78
        .size:           2
        .value_kind:     hidden_remainder_z
      - .offset:         96
        .size:           8
        .value_kind:     hidden_global_offset_x
      - .offset:         104
        .size:           8
        .value_kind:     hidden_global_offset_y
      - .offset:         112
        .size:           8
        .value_kind:     hidden_global_offset_z
      - .offset:         120
        .size:           2
        .value_kind:     hidden_grid_dims
    .group_segment_fixed_size: 0
    .kernarg_segment_align: 8
    .kernarg_segment_size: 312
    .language:       OpenCL C
    .language_version:
      - 2
      - 0
    .max_flat_workgroup_size: 4
    .name:           _Z30fast_hadamard_transform_kernelI37fast_hadamard_transform_kernel_traitsILi4ELi5EfEEv18HadamardParamsBase
    .private_segment_fixed_size: 0
    .sgpr_count:     21
    .sgpr_spill_count: 0
    .symbol:         _Z30fast_hadamard_transform_kernelI37fast_hadamard_transform_kernel_traitsILi4ELi5EfEEv18HadamardParamsBase.kd
    .uniform_work_group_size: 1
    .uses_dynamic_stack: false
    .vgpr_count:     17
    .vgpr_spill_count: 0
    .wavefront_size: 64
  - .args:
      - .offset:         0
        .size:           56
        .value_kind:     by_value
      - .offset:         56
        .size:           4
        .value_kind:     hidden_block_count_x
      - .offset:         60
        .size:           4
        .value_kind:     hidden_block_count_y
      - .offset:         64
        .size:           4
        .value_kind:     hidden_block_count_z
      - .offset:         68
        .size:           2
        .value_kind:     hidden_group_size_x
      - .offset:         70
        .size:           2
        .value_kind:     hidden_group_size_y
      - .offset:         72
        .size:           2
        .value_kind:     hidden_group_size_z
      - .offset:         74
        .size:           2
        .value_kind:     hidden_remainder_x
      - .offset:         76
        .size:           2
        .value_kind:     hidden_remainder_y
      - .offset:         78
        .size:           2
        .value_kind:     hidden_remainder_z
      - .offset:         96
        .size:           8
        .value_kind:     hidden_global_offset_x
      - .offset:         104
        .size:           8
        .value_kind:     hidden_global_offset_y
      - .offset:         112
        .size:           8
        .value_kind:     hidden_global_offset_z
      - .offset:         120
        .size:           2
        .value_kind:     hidden_grid_dims
    .group_segment_fixed_size: 0
    .kernarg_segment_align: 8
    .kernarg_segment_size: 312
    .language:       OpenCL C
    .language_version:
      - 2
      - 0
    .max_flat_workgroup_size: 8
    .name:           _Z30fast_hadamard_transform_kernelI37fast_hadamard_transform_kernel_traitsILi8ELi6EfEEv18HadamardParamsBase
    .private_segment_fixed_size: 0
    .sgpr_count:     21
    .sgpr_spill_count: 0
    .symbol:         _Z30fast_hadamard_transform_kernelI37fast_hadamard_transform_kernel_traitsILi8ELi6EfEEv18HadamardParamsBase.kd
    .uniform_work_group_size: 1
    .uses_dynamic_stack: false
    .vgpr_count:     17
    .vgpr_spill_count: 0
    .wavefront_size: 64
  - .args:
      - .offset:         0
        .size:           56
        .value_kind:     by_value
      - .offset:         56
        .size:           4
        .value_kind:     hidden_block_count_x
      - .offset:         60
        .size:           4
        .value_kind:     hidden_block_count_y
      - .offset:         64
        .size:           4
        .value_kind:     hidden_block_count_z
      - .offset:         68
        .size:           2
        .value_kind:     hidden_group_size_x
      - .offset:         70
        .size:           2
        .value_kind:     hidden_group_size_y
      - .offset:         72
        .size:           2
        .value_kind:     hidden_group_size_z
      - .offset:         74
        .size:           2
        .value_kind:     hidden_remainder_x
      - .offset:         76
        .size:           2
        .value_kind:     hidden_remainder_y
      - .offset:         78
        .size:           2
        .value_kind:     hidden_remainder_z
      - .offset:         96
        .size:           8
        .value_kind:     hidden_global_offset_x
      - .offset:         104
        .size:           8
        .value_kind:     hidden_global_offset_y
      - .offset:         112
        .size:           8
        .value_kind:     hidden_global_offset_z
      - .offset:         120
        .size:           2
        .value_kind:     hidden_grid_dims
    .group_segment_fixed_size: 0
    .kernarg_segment_align: 8
    .kernarg_segment_size: 312
    .language:       OpenCL C
    .language_version:
      - 2
      - 0
    .max_flat_workgroup_size: 16
    .name:           _Z30fast_hadamard_transform_kernelI37fast_hadamard_transform_kernel_traitsILi16ELi7EfEEv18HadamardParamsBase
    .private_segment_fixed_size: 0
    .sgpr_count:     21
    .sgpr_spill_count: 0
    .symbol:         _Z30fast_hadamard_transform_kernelI37fast_hadamard_transform_kernel_traitsILi16ELi7EfEEv18HadamardParamsBase.kd
    .uniform_work_group_size: 1
    .uses_dynamic_stack: false
    .vgpr_count:     17
    .vgpr_spill_count: 0
    .wavefront_size: 64
  - .args:
      - .offset:         0
        .size:           56
        .value_kind:     by_value
      - .offset:         56
        .size:           4
        .value_kind:     hidden_block_count_x
      - .offset:         60
        .size:           4
        .value_kind:     hidden_block_count_y
      - .offset:         64
        .size:           4
        .value_kind:     hidden_block_count_z
      - .offset:         68
        .size:           2
        .value_kind:     hidden_group_size_x
      - .offset:         70
        .size:           2
        .value_kind:     hidden_group_size_y
      - .offset:         72
        .size:           2
        .value_kind:     hidden_group_size_z
      - .offset:         74
        .size:           2
        .value_kind:     hidden_remainder_x
      - .offset:         76
        .size:           2
        .value_kind:     hidden_remainder_y
      - .offset:         78
        .size:           2
        .value_kind:     hidden_remainder_z
      - .offset:         96
        .size:           8
        .value_kind:     hidden_global_offset_x
      - .offset:         104
        .size:           8
        .value_kind:     hidden_global_offset_y
      - .offset:         112
        .size:           8
        .value_kind:     hidden_global_offset_z
      - .offset:         120
        .size:           2
        .value_kind:     hidden_grid_dims
    .group_segment_fixed_size: 0
    .kernarg_segment_align: 8
    .kernarg_segment_size: 312
    .language:       OpenCL C
    .language_version:
      - 2
      - 0
    .max_flat_workgroup_size: 32
    .name:           _Z30fast_hadamard_transform_kernelI37fast_hadamard_transform_kernel_traitsILi32ELi8EfEEv18HadamardParamsBase
    .private_segment_fixed_size: 0
    .sgpr_count:     21
    .sgpr_spill_count: 0
    .symbol:         _Z30fast_hadamard_transform_kernelI37fast_hadamard_transform_kernel_traitsILi32ELi8EfEEv18HadamardParamsBase.kd
    .uniform_work_group_size: 1
    .uses_dynamic_stack: false
    .vgpr_count:     17
    .vgpr_spill_count: 0
    .wavefront_size: 64
  - .args:
      - .offset:         0
        .size:           56
        .value_kind:     by_value
      - .offset:         56
        .size:           4
        .value_kind:     hidden_block_count_x
      - .offset:         60
        .size:           4
        .value_kind:     hidden_block_count_y
      - .offset:         64
        .size:           4
        .value_kind:     hidden_block_count_z
      - .offset:         68
        .size:           2
        .value_kind:     hidden_group_size_x
      - .offset:         70
        .size:           2
        .value_kind:     hidden_group_size_y
      - .offset:         72
        .size:           2
        .value_kind:     hidden_group_size_z
      - .offset:         74
        .size:           2
        .value_kind:     hidden_remainder_x
      - .offset:         76
        .size:           2
        .value_kind:     hidden_remainder_y
      - .offset:         78
        .size:           2
        .value_kind:     hidden_remainder_z
      - .offset:         96
        .size:           8
        .value_kind:     hidden_global_offset_x
      - .offset:         104
        .size:           8
        .value_kind:     hidden_global_offset_y
      - .offset:         112
        .size:           8
        .value_kind:     hidden_global_offset_z
      - .offset:         120
        .size:           2
        .value_kind:     hidden_grid_dims
    .group_segment_fixed_size: 0
    .kernarg_segment_align: 8
    .kernarg_segment_size: 312
    .language:       OpenCL C
    .language_version:
      - 2
      - 0
    .max_flat_workgroup_size: 32
    .name:           _Z30fast_hadamard_transform_kernelI37fast_hadamard_transform_kernel_traitsILi32ELi9EfEEv18HadamardParamsBase
    .private_segment_fixed_size: 0
    .sgpr_count:     25
    .sgpr_spill_count: 0
    .symbol:         _Z30fast_hadamard_transform_kernelI37fast_hadamard_transform_kernel_traitsILi32ELi9EfEEv18HadamardParamsBase.kd
    .uniform_work_group_size: 1
    .uses_dynamic_stack: false
    .vgpr_count:     34
    .vgpr_spill_count: 0
    .wavefront_size: 64
  - .args:
      - .offset:         0
        .size:           56
        .value_kind:     by_value
      - .offset:         56
        .size:           4
        .value_kind:     hidden_block_count_x
      - .offset:         60
        .size:           4
        .value_kind:     hidden_block_count_y
      - .offset:         64
        .size:           4
        .value_kind:     hidden_block_count_z
      - .offset:         68
        .size:           2
        .value_kind:     hidden_group_size_x
      - .offset:         70
        .size:           2
        .value_kind:     hidden_group_size_y
      - .offset:         72
        .size:           2
        .value_kind:     hidden_group_size_z
      - .offset:         74
        .size:           2
        .value_kind:     hidden_remainder_x
      - .offset:         76
        .size:           2
        .value_kind:     hidden_remainder_y
      - .offset:         78
        .size:           2
        .value_kind:     hidden_remainder_z
      - .offset:         96
        .size:           8
        .value_kind:     hidden_global_offset_x
      - .offset:         104
        .size:           8
        .value_kind:     hidden_global_offset_y
      - .offset:         112
        .size:           8
        .value_kind:     hidden_global_offset_z
      - .offset:         120
        .size:           2
        .value_kind:     hidden_grid_dims
      - .offset:         176
        .size:           4
        .value_kind:     hidden_dynamic_lds_size
    .group_segment_fixed_size: 0
    .kernarg_segment_align: 8
    .kernarg_segment_size: 312
    .language:       OpenCL C
    .language_version:
      - 2
      - 0
    .max_flat_workgroup_size: 128
    .name:           _Z30fast_hadamard_transform_kernelI37fast_hadamard_transform_kernel_traitsILi128ELi10EfEEv18HadamardParamsBase
    .private_segment_fixed_size: 0
    .sgpr_count:     21
    .sgpr_spill_count: 0
    .symbol:         _Z30fast_hadamard_transform_kernelI37fast_hadamard_transform_kernel_traitsILi128ELi10EfEEv18HadamardParamsBase.kd
    .uniform_work_group_size: 1
    .uses_dynamic_stack: false
    .vgpr_count:     19
    .vgpr_spill_count: 0
    .wavefront_size: 64
  - .args:
      - .offset:         0
        .size:           56
        .value_kind:     by_value
      - .offset:         56
        .size:           4
        .value_kind:     hidden_block_count_x
      - .offset:         60
        .size:           4
        .value_kind:     hidden_block_count_y
      - .offset:         64
        .size:           4
        .value_kind:     hidden_block_count_z
      - .offset:         68
        .size:           2
        .value_kind:     hidden_group_size_x
      - .offset:         70
        .size:           2
        .value_kind:     hidden_group_size_y
      - .offset:         72
        .size:           2
        .value_kind:     hidden_group_size_z
      - .offset:         74
        .size:           2
        .value_kind:     hidden_remainder_x
      - .offset:         76
        .size:           2
        .value_kind:     hidden_remainder_y
      - .offset:         78
        .size:           2
        .value_kind:     hidden_remainder_z
      - .offset:         96
        .size:           8
        .value_kind:     hidden_global_offset_x
      - .offset:         104
        .size:           8
        .value_kind:     hidden_global_offset_y
      - .offset:         112
        .size:           8
        .value_kind:     hidden_global_offset_z
      - .offset:         120
        .size:           2
        .value_kind:     hidden_grid_dims
      - .offset:         176
        .size:           4
        .value_kind:     hidden_dynamic_lds_size
    .group_segment_fixed_size: 0
    .kernarg_segment_align: 8
    .kernarg_segment_size: 312
    .language:       OpenCL C
    .language_version:
      - 2
      - 0
    .max_flat_workgroup_size: 256
    .name:           _Z30fast_hadamard_transform_kernelI37fast_hadamard_transform_kernel_traitsILi256ELi11EfEEv18HadamardParamsBase
    .private_segment_fixed_size: 0
    .sgpr_count:     24
    .sgpr_spill_count: 0
    .symbol:         _Z30fast_hadamard_transform_kernelI37fast_hadamard_transform_kernel_traitsILi256ELi11EfEEv18HadamardParamsBase.kd
    .uniform_work_group_size: 1
    .uses_dynamic_stack: false
    .vgpr_count:     19
    .vgpr_spill_count: 0
    .wavefront_size: 64
  - .args:
      - .offset:         0
        .size:           56
        .value_kind:     by_value
      - .offset:         56
        .size:           4
        .value_kind:     hidden_block_count_x
      - .offset:         60
        .size:           4
        .value_kind:     hidden_block_count_y
      - .offset:         64
        .size:           4
        .value_kind:     hidden_block_count_z
      - .offset:         68
        .size:           2
        .value_kind:     hidden_group_size_x
      - .offset:         70
        .size:           2
        .value_kind:     hidden_group_size_y
      - .offset:         72
        .size:           2
        .value_kind:     hidden_group_size_z
      - .offset:         74
        .size:           2
        .value_kind:     hidden_remainder_x
      - .offset:         76
        .size:           2
        .value_kind:     hidden_remainder_y
      - .offset:         78
        .size:           2
        .value_kind:     hidden_remainder_z
      - .offset:         96
        .size:           8
        .value_kind:     hidden_global_offset_x
      - .offset:         104
        .size:           8
        .value_kind:     hidden_global_offset_y
      - .offset:         112
        .size:           8
        .value_kind:     hidden_global_offset_z
      - .offset:         120
        .size:           2
        .value_kind:     hidden_grid_dims
      - .offset:         176
        .size:           4
        .value_kind:     hidden_dynamic_lds_size
    .group_segment_fixed_size: 0
    .kernarg_segment_align: 8
    .kernarg_segment_size: 312
    .language:       OpenCL C
    .language_version:
      - 2
      - 0
    .max_flat_workgroup_size: 256
    .name:           _Z30fast_hadamard_transform_kernelI37fast_hadamard_transform_kernel_traitsILi256ELi12EfEEv18HadamardParamsBase
    .private_segment_fixed_size: 0
    .sgpr_count:     28
    .sgpr_spill_count: 0
    .symbol:         _Z30fast_hadamard_transform_kernelI37fast_hadamard_transform_kernel_traitsILi256ELi12EfEEv18HadamardParamsBase.kd
    .uniform_work_group_size: 1
    .uses_dynamic_stack: false
    .vgpr_count:     34
    .vgpr_spill_count: 0
    .wavefront_size: 64
  - .args:
      - .offset:         0
        .size:           56
        .value_kind:     by_value
      - .offset:         56
        .size:           4
        .value_kind:     hidden_block_count_x
      - .offset:         60
        .size:           4
        .value_kind:     hidden_block_count_y
      - .offset:         64
        .size:           4
        .value_kind:     hidden_block_count_z
      - .offset:         68
        .size:           2
        .value_kind:     hidden_group_size_x
      - .offset:         70
        .size:           2
        .value_kind:     hidden_group_size_y
      - .offset:         72
        .size:           2
        .value_kind:     hidden_group_size_z
      - .offset:         74
        .size:           2
        .value_kind:     hidden_remainder_x
      - .offset:         76
        .size:           2
        .value_kind:     hidden_remainder_y
      - .offset:         78
        .size:           2
        .value_kind:     hidden_remainder_z
      - .offset:         96
        .size:           8
        .value_kind:     hidden_global_offset_x
      - .offset:         104
        .size:           8
        .value_kind:     hidden_global_offset_y
      - .offset:         112
        .size:           8
        .value_kind:     hidden_global_offset_z
      - .offset:         120
        .size:           2
        .value_kind:     hidden_grid_dims
      - .offset:         176
        .size:           4
        .value_kind:     hidden_dynamic_lds_size
    .group_segment_fixed_size: 0
    .kernarg_segment_align: 8
    .kernarg_segment_size: 312
    .language:       OpenCL C
    .language_version:
      - 2
      - 0
    .max_flat_workgroup_size: 256
    .name:           _Z30fast_hadamard_transform_kernelI37fast_hadamard_transform_kernel_traitsILi256ELi13EfEEv18HadamardParamsBase
    .private_segment_fixed_size: 0
    .sgpr_count:     32
    .sgpr_spill_count: 0
    .symbol:         _Z30fast_hadamard_transform_kernelI37fast_hadamard_transform_kernel_traitsILi256ELi13EfEEv18HadamardParamsBase.kd
    .uniform_work_group_size: 1
    .uses_dynamic_stack: false
    .vgpr_count:     70
    .vgpr_spill_count: 0
    .wavefront_size: 64
  - .args:
      - .offset:         0
        .size:           56
        .value_kind:     by_value
      - .offset:         56
        .size:           4
        .value_kind:     hidden_block_count_x
      - .offset:         60
        .size:           4
        .value_kind:     hidden_block_count_y
      - .offset:         64
        .size:           4
        .value_kind:     hidden_block_count_z
      - .offset:         68
        .size:           2
        .value_kind:     hidden_group_size_x
      - .offset:         70
        .size:           2
        .value_kind:     hidden_group_size_y
      - .offset:         72
        .size:           2
        .value_kind:     hidden_group_size_z
      - .offset:         74
        .size:           2
        .value_kind:     hidden_remainder_x
      - .offset:         76
        .size:           2
        .value_kind:     hidden_remainder_y
      - .offset:         78
        .size:           2
        .value_kind:     hidden_remainder_z
      - .offset:         96
        .size:           8
        .value_kind:     hidden_global_offset_x
      - .offset:         104
        .size:           8
        .value_kind:     hidden_global_offset_y
      - .offset:         112
        .size:           8
        .value_kind:     hidden_global_offset_z
      - .offset:         120
        .size:           2
        .value_kind:     hidden_grid_dims
      - .offset:         176
        .size:           4
        .value_kind:     hidden_dynamic_lds_size
    .group_segment_fixed_size: 0
    .kernarg_segment_align: 8
    .kernarg_segment_size: 312
    .language:       OpenCL C
    .language_version:
      - 2
      - 0
    .max_flat_workgroup_size: 256
    .name:           _Z30fast_hadamard_transform_kernelI37fast_hadamard_transform_kernel_traitsILi256ELi14EfEEv18HadamardParamsBase
    .private_segment_fixed_size: 0
    .sgpr_count:     52
    .sgpr_spill_count: 0
    .symbol:         _Z30fast_hadamard_transform_kernelI37fast_hadamard_transform_kernel_traitsILi256ELi14EfEEv18HadamardParamsBase.kd
    .uniform_work_group_size: 1
    .uses_dynamic_stack: false
    .vgpr_count:     144
    .vgpr_spill_count: 0
    .wavefront_size: 64
  - .args:
      - .offset:         0
        .size:           56
        .value_kind:     by_value
      - .offset:         56
        .size:           4
        .value_kind:     hidden_block_count_x
      - .offset:         60
        .size:           4
        .value_kind:     hidden_block_count_y
      - .offset:         64
        .size:           4
        .value_kind:     hidden_block_count_z
      - .offset:         68
        .size:           2
        .value_kind:     hidden_group_size_x
      - .offset:         70
        .size:           2
        .value_kind:     hidden_group_size_y
      - .offset:         72
        .size:           2
        .value_kind:     hidden_group_size_z
      - .offset:         74
        .size:           2
        .value_kind:     hidden_remainder_x
      - .offset:         76
        .size:           2
        .value_kind:     hidden_remainder_y
      - .offset:         78
        .size:           2
        .value_kind:     hidden_remainder_z
      - .offset:         96
        .size:           8
        .value_kind:     hidden_global_offset_x
      - .offset:         104
        .size:           8
        .value_kind:     hidden_global_offset_y
      - .offset:         112
        .size:           8
        .value_kind:     hidden_global_offset_z
      - .offset:         120
        .size:           2
        .value_kind:     hidden_grid_dims
      - .offset:         176
        .size:           4
        .value_kind:     hidden_dynamic_lds_size
    .group_segment_fixed_size: 0
    .kernarg_segment_align: 8
    .kernarg_segment_size: 312
    .language:       OpenCL C
    .language_version:
      - 2
      - 0
    .max_flat_workgroup_size: 256
    .name:           _Z30fast_hadamard_transform_kernelI37fast_hadamard_transform_kernel_traitsILi256ELi15EfEEv18HadamardParamsBase
    .private_segment_fixed_size: 268
    .sgpr_count:     88
    .sgpr_spill_count: 0
    .symbol:         _Z30fast_hadamard_transform_kernelI37fast_hadamard_transform_kernel_traitsILi256ELi15EfEEv18HadamardParamsBase.kd
    .uniform_work_group_size: 1
    .uses_dynamic_stack: false
    .vgpr_count:     256
    .vgpr_spill_count: 69
    .wavefront_size: 64
  - .args:
      - .offset:         0
        .size:           56
        .value_kind:     by_value
    .group_segment_fixed_size: 0
    .kernarg_segment_align: 8
    .kernarg_segment_size: 56
    .language:       OpenCL C
    .language_version:
      - 2
      - 0
    .max_flat_workgroup_size: 1
    .name:           _Z30fast_hadamard_transform_kernelI37fast_hadamard_transform_kernel_traitsILi1ELi3E6__halfEEv18HadamardParamsBase
    .private_segment_fixed_size: 0
    .sgpr_count:     17
    .sgpr_spill_count: 0
    .symbol:         _Z30fast_hadamard_transform_kernelI37fast_hadamard_transform_kernel_traitsILi1ELi3E6__halfEEv18HadamardParamsBase.kd
    .uniform_work_group_size: 1
    .uses_dynamic_stack: false
    .vgpr_count:     16
    .vgpr_spill_count: 0
    .wavefront_size: 64
  - .args:
      - .offset:         0
        .size:           56
        .value_kind:     by_value
    .group_segment_fixed_size: 0
    .kernarg_segment_align: 8
    .kernarg_segment_size: 56
    .language:       OpenCL C
    .language_version:
      - 2
      - 0
    .max_flat_workgroup_size: 2
    .name:           _Z30fast_hadamard_transform_kernelI37fast_hadamard_transform_kernel_traitsILi2ELi4E6__halfEEv18HadamardParamsBase
    .private_segment_fixed_size: 0
    .sgpr_count:     16
    .sgpr_spill_count: 0
    .symbol:         _Z30fast_hadamard_transform_kernelI37fast_hadamard_transform_kernel_traitsILi2ELi4E6__halfEEv18HadamardParamsBase.kd
    .uniform_work_group_size: 1
    .uses_dynamic_stack: false
    .vgpr_count:     18
    .vgpr_spill_count: 0
    .wavefront_size: 64
  - .args:
      - .offset:         0
        .size:           56
        .value_kind:     by_value
    .group_segment_fixed_size: 0
    .kernarg_segment_align: 8
    .kernarg_segment_size: 56
    .language:       OpenCL C
    .language_version:
      - 2
      - 0
    .max_flat_workgroup_size: 4
    .name:           _Z30fast_hadamard_transform_kernelI37fast_hadamard_transform_kernel_traitsILi4ELi5E6__halfEEv18HadamardParamsBase
    .private_segment_fixed_size: 0
    .sgpr_count:     16
    .sgpr_spill_count: 0
    .symbol:         _Z30fast_hadamard_transform_kernelI37fast_hadamard_transform_kernel_traitsILi4ELi5E6__halfEEv18HadamardParamsBase.kd
    .uniform_work_group_size: 1
    .uses_dynamic_stack: false
    .vgpr_count:     18
    .vgpr_spill_count: 0
    .wavefront_size: 64
  - .args:
      - .offset:         0
        .size:           56
        .value_kind:     by_value
    .group_segment_fixed_size: 0
    .kernarg_segment_align: 8
    .kernarg_segment_size: 56
    .language:       OpenCL C
    .language_version:
      - 2
      - 0
    .max_flat_workgroup_size: 8
    .name:           _Z30fast_hadamard_transform_kernelI37fast_hadamard_transform_kernel_traitsILi8ELi6E6__halfEEv18HadamardParamsBase
    .private_segment_fixed_size: 0
    .sgpr_count:     16
    .sgpr_spill_count: 0
    .symbol:         _Z30fast_hadamard_transform_kernelI37fast_hadamard_transform_kernel_traitsILi8ELi6E6__halfEEv18HadamardParamsBase.kd
    .uniform_work_group_size: 1
    .uses_dynamic_stack: false
    .vgpr_count:     18
    .vgpr_spill_count: 0
    .wavefront_size: 64
  - .args:
      - .offset:         0
        .size:           56
        .value_kind:     by_value
    .group_segment_fixed_size: 0
    .kernarg_segment_align: 8
    .kernarg_segment_size: 56
    .language:       OpenCL C
    .language_version:
      - 2
      - 0
    .max_flat_workgroup_size: 16
    .name:           _Z30fast_hadamard_transform_kernelI37fast_hadamard_transform_kernel_traitsILi16ELi7E6__halfEEv18HadamardParamsBase
    .private_segment_fixed_size: 0
    .sgpr_count:     16
    .sgpr_spill_count: 0
    .symbol:         _Z30fast_hadamard_transform_kernelI37fast_hadamard_transform_kernel_traitsILi16ELi7E6__halfEEv18HadamardParamsBase.kd
    .uniform_work_group_size: 1
    .uses_dynamic_stack: false
    .vgpr_count:     18
    .vgpr_spill_count: 0
    .wavefront_size: 64
  - .args:
      - .offset:         0
        .size:           56
        .value_kind:     by_value
    .group_segment_fixed_size: 0
    .kernarg_segment_align: 8
    .kernarg_segment_size: 56
    .language:       OpenCL C
    .language_version:
      - 2
      - 0
    .max_flat_workgroup_size: 32
    .name:           _Z30fast_hadamard_transform_kernelI37fast_hadamard_transform_kernel_traitsILi32ELi8E6__halfEEv18HadamardParamsBase
    .private_segment_fixed_size: 0
    .sgpr_count:     16
    .sgpr_spill_count: 0
    .symbol:         _Z30fast_hadamard_transform_kernelI37fast_hadamard_transform_kernel_traitsILi32ELi8E6__halfEEv18HadamardParamsBase.kd
    .uniform_work_group_size: 1
    .uses_dynamic_stack: false
    .vgpr_count:     18
    .vgpr_spill_count: 0
    .wavefront_size: 64
  - .args:
      - .offset:         0
        .size:           56
        .value_kind:     by_value
      - .offset:         56
        .size:           4
        .value_kind:     hidden_block_count_x
      - .offset:         60
        .size:           4
        .value_kind:     hidden_block_count_y
      - .offset:         64
        .size:           4
        .value_kind:     hidden_block_count_z
      - .offset:         68
        .size:           2
        .value_kind:     hidden_group_size_x
      - .offset:         70
        .size:           2
        .value_kind:     hidden_group_size_y
      - .offset:         72
        .size:           2
        .value_kind:     hidden_group_size_z
      - .offset:         74
        .size:           2
        .value_kind:     hidden_remainder_x
      - .offset:         76
        .size:           2
        .value_kind:     hidden_remainder_y
      - .offset:         78
        .size:           2
        .value_kind:     hidden_remainder_z
      - .offset:         96
        .size:           8
        .value_kind:     hidden_global_offset_x
      - .offset:         104
        .size:           8
        .value_kind:     hidden_global_offset_y
      - .offset:         112
        .size:           8
        .value_kind:     hidden_global_offset_z
      - .offset:         120
        .size:           2
        .value_kind:     hidden_grid_dims
    .group_segment_fixed_size: 0
    .kernarg_segment_align: 8
    .kernarg_segment_size: 312
    .language:       OpenCL C
    .language_version:
      - 2
      - 0
    .max_flat_workgroup_size: 32
    .name:           _Z30fast_hadamard_transform_kernelI37fast_hadamard_transform_kernel_traitsILi32ELi9E6__halfEEv18HadamardParamsBase
    .private_segment_fixed_size: 0
    .sgpr_count:     24
    .sgpr_spill_count: 0
    .symbol:         _Z30fast_hadamard_transform_kernelI37fast_hadamard_transform_kernel_traitsILi32ELi9E6__halfEEv18HadamardParamsBase.kd
    .uniform_work_group_size: 1
    .uses_dynamic_stack: false
    .vgpr_count:     27
    .vgpr_spill_count: 0
    .wavefront_size: 64
  - .args:
      - .offset:         0
        .size:           56
        .value_kind:     by_value
    .group_segment_fixed_size: 0
    .kernarg_segment_align: 8
    .kernarg_segment_size: 56
    .language:       OpenCL C
    .language_version:
      - 2
      - 0
    .max_flat_workgroup_size: 128
    .name:           _Z30fast_hadamard_transform_kernelI37fast_hadamard_transform_kernel_traitsILi128ELi10E6__halfEEv18HadamardParamsBase
    .private_segment_fixed_size: 0
    .sgpr_count:     16
    .sgpr_spill_count: 0
    .symbol:         _Z30fast_hadamard_transform_kernelI37fast_hadamard_transform_kernel_traitsILi128ELi10E6__halfEEv18HadamardParamsBase.kd
    .uniform_work_group_size: 1
    .uses_dynamic_stack: false
    .vgpr_count:     18
    .vgpr_spill_count: 0
    .wavefront_size: 64
  - .args:
      - .offset:         0
        .size:           56
        .value_kind:     by_value
    .group_segment_fixed_size: 0
    .kernarg_segment_align: 8
    .kernarg_segment_size: 56
    .language:       OpenCL C
    .language_version:
      - 2
      - 0
    .max_flat_workgroup_size: 256
    .name:           _Z30fast_hadamard_transform_kernelI37fast_hadamard_transform_kernel_traitsILi256ELi11E6__halfEEv18HadamardParamsBase
    .private_segment_fixed_size: 0
    .sgpr_count:     16
    .sgpr_spill_count: 0
    .symbol:         _Z30fast_hadamard_transform_kernelI37fast_hadamard_transform_kernel_traitsILi256ELi11E6__halfEEv18HadamardParamsBase.kd
    .uniform_work_group_size: 1
    .uses_dynamic_stack: false
    .vgpr_count:     18
    .vgpr_spill_count: 0
    .wavefront_size: 64
  - .args:
      - .offset:         0
        .size:           56
        .value_kind:     by_value
      - .offset:         56
        .size:           4
        .value_kind:     hidden_block_count_x
      - .offset:         60
        .size:           4
        .value_kind:     hidden_block_count_y
      - .offset:         64
        .size:           4
        .value_kind:     hidden_block_count_z
      - .offset:         68
        .size:           2
        .value_kind:     hidden_group_size_x
      - .offset:         70
        .size:           2
        .value_kind:     hidden_group_size_y
      - .offset:         72
        .size:           2
        .value_kind:     hidden_group_size_z
      - .offset:         74
        .size:           2
        .value_kind:     hidden_remainder_x
      - .offset:         76
        .size:           2
        .value_kind:     hidden_remainder_y
      - .offset:         78
        .size:           2
        .value_kind:     hidden_remainder_z
      - .offset:         96
        .size:           8
        .value_kind:     hidden_global_offset_x
      - .offset:         104
        .size:           8
        .value_kind:     hidden_global_offset_y
      - .offset:         112
        .size:           8
        .value_kind:     hidden_global_offset_z
      - .offset:         120
        .size:           2
        .value_kind:     hidden_grid_dims
      - .offset:         176
        .size:           4
        .value_kind:     hidden_dynamic_lds_size
    .group_segment_fixed_size: 0
    .kernarg_segment_align: 8
    .kernarg_segment_size: 312
    .language:       OpenCL C
    .language_version:
      - 2
      - 0
    .max_flat_workgroup_size: 256
    .name:           _Z30fast_hadamard_transform_kernelI37fast_hadamard_transform_kernel_traitsILi256ELi12E6__halfEEv18HadamardParamsBase
    .private_segment_fixed_size: 0
    .sgpr_count:     24
    .sgpr_spill_count: 0
    .symbol:         _Z30fast_hadamard_transform_kernelI37fast_hadamard_transform_kernel_traitsILi256ELi12E6__halfEEv18HadamardParamsBase.kd
    .uniform_work_group_size: 1
    .uses_dynamic_stack: false
    .vgpr_count:     33
    .vgpr_spill_count: 0
    .wavefront_size: 64
  - .args:
      - .offset:         0
        .size:           56
        .value_kind:     by_value
      - .offset:         56
        .size:           4
        .value_kind:     hidden_block_count_x
      - .offset:         60
        .size:           4
        .value_kind:     hidden_block_count_y
      - .offset:         64
        .size:           4
        .value_kind:     hidden_block_count_z
      - .offset:         68
        .size:           2
        .value_kind:     hidden_group_size_x
      - .offset:         70
        .size:           2
        .value_kind:     hidden_group_size_y
      - .offset:         72
        .size:           2
        .value_kind:     hidden_group_size_z
      - .offset:         74
        .size:           2
        .value_kind:     hidden_remainder_x
      - .offset:         76
        .size:           2
        .value_kind:     hidden_remainder_y
      - .offset:         78
        .size:           2
        .value_kind:     hidden_remainder_z
      - .offset:         96
        .size:           8
        .value_kind:     hidden_global_offset_x
      - .offset:         104
        .size:           8
        .value_kind:     hidden_global_offset_y
      - .offset:         112
        .size:           8
        .value_kind:     hidden_global_offset_z
      - .offset:         120
        .size:           2
        .value_kind:     hidden_grid_dims
      - .offset:         176
        .size:           4
        .value_kind:     hidden_dynamic_lds_size
    .group_segment_fixed_size: 0
    .kernarg_segment_align: 8
    .kernarg_segment_size: 312
    .language:       OpenCL C
    .language_version:
      - 2
      - 0
    .max_flat_workgroup_size: 256
    .name:           _Z30fast_hadamard_transform_kernelI37fast_hadamard_transform_kernel_traitsILi256ELi13E6__halfEEv18HadamardParamsBase
    .private_segment_fixed_size: 0
    .sgpr_count:     28
    .sgpr_spill_count: 0
    .symbol:         _Z30fast_hadamard_transform_kernelI37fast_hadamard_transform_kernel_traitsILi256ELi13E6__halfEEv18HadamardParamsBase.kd
    .uniform_work_group_size: 1
    .uses_dynamic_stack: false
    .vgpr_count:     62
    .vgpr_spill_count: 0
    .wavefront_size: 64
  - .args:
      - .offset:         0
        .size:           56
        .value_kind:     by_value
      - .offset:         56
        .size:           4
        .value_kind:     hidden_block_count_x
      - .offset:         60
        .size:           4
        .value_kind:     hidden_block_count_y
      - .offset:         64
        .size:           4
        .value_kind:     hidden_block_count_z
      - .offset:         68
        .size:           2
        .value_kind:     hidden_group_size_x
      - .offset:         70
        .size:           2
        .value_kind:     hidden_group_size_y
      - .offset:         72
        .size:           2
        .value_kind:     hidden_group_size_z
      - .offset:         74
        .size:           2
        .value_kind:     hidden_remainder_x
      - .offset:         76
        .size:           2
        .value_kind:     hidden_remainder_y
      - .offset:         78
        .size:           2
        .value_kind:     hidden_remainder_z
      - .offset:         96
        .size:           8
        .value_kind:     hidden_global_offset_x
      - .offset:         104
        .size:           8
        .value_kind:     hidden_global_offset_y
      - .offset:         112
        .size:           8
        .value_kind:     hidden_global_offset_z
      - .offset:         120
        .size:           2
        .value_kind:     hidden_grid_dims
      - .offset:         176
        .size:           4
        .value_kind:     hidden_dynamic_lds_size
    .group_segment_fixed_size: 0
    .kernarg_segment_align: 8
    .kernarg_segment_size: 312
    .language:       OpenCL C
    .language_version:
      - 2
      - 0
    .max_flat_workgroup_size: 256
    .name:           _Z30fast_hadamard_transform_kernelI37fast_hadamard_transform_kernel_traitsILi256ELi14E6__halfEEv18HadamardParamsBase
    .private_segment_fixed_size: 0
    .sgpr_count:     32
    .sgpr_spill_count: 0
    .symbol:         _Z30fast_hadamard_transform_kernelI37fast_hadamard_transform_kernel_traitsILi256ELi14E6__halfEEv18HadamardParamsBase.kd
    .uniform_work_group_size: 1
    .uses_dynamic_stack: false
    .vgpr_count:     139
    .vgpr_spill_count: 0
    .wavefront_size: 64
  - .args:
      - .offset:         0
        .size:           56
        .value_kind:     by_value
      - .offset:         56
        .size:           4
        .value_kind:     hidden_block_count_x
      - .offset:         60
        .size:           4
        .value_kind:     hidden_block_count_y
      - .offset:         64
        .size:           4
        .value_kind:     hidden_block_count_z
      - .offset:         68
        .size:           2
        .value_kind:     hidden_group_size_x
      - .offset:         70
        .size:           2
        .value_kind:     hidden_group_size_y
      - .offset:         72
        .size:           2
        .value_kind:     hidden_group_size_z
      - .offset:         74
        .size:           2
        .value_kind:     hidden_remainder_x
      - .offset:         76
        .size:           2
        .value_kind:     hidden_remainder_y
      - .offset:         78
        .size:           2
        .value_kind:     hidden_remainder_z
      - .offset:         96
        .size:           8
        .value_kind:     hidden_global_offset_x
      - .offset:         104
        .size:           8
        .value_kind:     hidden_global_offset_y
      - .offset:         112
        .size:           8
        .value_kind:     hidden_global_offset_z
      - .offset:         120
        .size:           2
        .value_kind:     hidden_grid_dims
      - .offset:         176
        .size:           4
        .value_kind:     hidden_dynamic_lds_size
    .group_segment_fixed_size: 0
    .kernarg_segment_align: 8
    .kernarg_segment_size: 312
    .language:       OpenCL C
    .language_version:
      - 2
      - 0
    .max_flat_workgroup_size: 256
    .name:           _Z30fast_hadamard_transform_kernelI37fast_hadamard_transform_kernel_traitsILi256ELi15E6__halfEEv18HadamardParamsBase
    .private_segment_fixed_size: 164
    .sgpr_count:     56
    .sgpr_spill_count: 0
    .symbol:         _Z30fast_hadamard_transform_kernelI37fast_hadamard_transform_kernel_traitsILi256ELi15E6__halfEEv18HadamardParamsBase.kd
    .uniform_work_group_size: 1
    .uses_dynamic_stack: false
    .vgpr_count:     256
    .vgpr_spill_count: 42
    .wavefront_size: 64
  - .args:
      - .offset:         0
        .size:           56
        .value_kind:     by_value
    .group_segment_fixed_size: 0
    .kernarg_segment_align: 8
    .kernarg_segment_size: 56
    .language:       OpenCL C
    .language_version:
      - 2
      - 0
    .max_flat_workgroup_size: 1
    .name:           _Z30fast_hadamard_transform_kernelI37fast_hadamard_transform_kernel_traitsILi1ELi3E14__hip_bfloat16EEv18HadamardParamsBase
    .private_segment_fixed_size: 0
    .sgpr_count:     21
    .sgpr_spill_count: 0
    .symbol:         _Z30fast_hadamard_transform_kernelI37fast_hadamard_transform_kernel_traitsILi1ELi3E14__hip_bfloat16EEv18HadamardParamsBase.kd
    .uniform_work_group_size: 1
    .uses_dynamic_stack: false
    .vgpr_count:     14
    .vgpr_spill_count: 0
    .wavefront_size: 64
  - .args:
      - .offset:         0
        .size:           56
        .value_kind:     by_value
    .group_segment_fixed_size: 0
    .kernarg_segment_align: 8
    .kernarg_segment_size: 56
    .language:       OpenCL C
    .language_version:
      - 2
      - 0
    .max_flat_workgroup_size: 2
    .name:           _Z30fast_hadamard_transform_kernelI37fast_hadamard_transform_kernel_traitsILi2ELi4E14__hip_bfloat16EEv18HadamardParamsBase
    .private_segment_fixed_size: 0
    .sgpr_count:     16
    .sgpr_spill_count: 0
    .symbol:         _Z30fast_hadamard_transform_kernelI37fast_hadamard_transform_kernel_traitsILi2ELi4E14__hip_bfloat16EEv18HadamardParamsBase.kd
    .uniform_work_group_size: 1
    .uses_dynamic_stack: false
    .vgpr_count:     18
    .vgpr_spill_count: 0
    .wavefront_size: 64
  - .args:
      - .offset:         0
        .size:           56
        .value_kind:     by_value
    .group_segment_fixed_size: 0
    .kernarg_segment_align: 8
    .kernarg_segment_size: 56
    .language:       OpenCL C
    .language_version:
      - 2
      - 0
    .max_flat_workgroup_size: 4
    .name:           _Z30fast_hadamard_transform_kernelI37fast_hadamard_transform_kernel_traitsILi4ELi5E14__hip_bfloat16EEv18HadamardParamsBase
    .private_segment_fixed_size: 0
    .sgpr_count:     16
    .sgpr_spill_count: 0
    .symbol:         _Z30fast_hadamard_transform_kernelI37fast_hadamard_transform_kernel_traitsILi4ELi5E14__hip_bfloat16EEv18HadamardParamsBase.kd
    .uniform_work_group_size: 1
    .uses_dynamic_stack: false
    .vgpr_count:     18
    .vgpr_spill_count: 0
    .wavefront_size: 64
  - .args:
      - .offset:         0
        .size:           56
        .value_kind:     by_value
    .group_segment_fixed_size: 0
    .kernarg_segment_align: 8
    .kernarg_segment_size: 56
    .language:       OpenCL C
    .language_version:
      - 2
      - 0
    .max_flat_workgroup_size: 8
    .name:           _Z30fast_hadamard_transform_kernelI37fast_hadamard_transform_kernel_traitsILi8ELi6E14__hip_bfloat16EEv18HadamardParamsBase
    .private_segment_fixed_size: 0
    .sgpr_count:     16
    .sgpr_spill_count: 0
    .symbol:         _Z30fast_hadamard_transform_kernelI37fast_hadamard_transform_kernel_traitsILi8ELi6E14__hip_bfloat16EEv18HadamardParamsBase.kd
    .uniform_work_group_size: 1
    .uses_dynamic_stack: false
    .vgpr_count:     18
    .vgpr_spill_count: 0
    .wavefront_size: 64
  - .args:
      - .offset:         0
        .size:           56
        .value_kind:     by_value
    .group_segment_fixed_size: 0
    .kernarg_segment_align: 8
    .kernarg_segment_size: 56
    .language:       OpenCL C
    .language_version:
      - 2
      - 0
    .max_flat_workgroup_size: 16
    .name:           _Z30fast_hadamard_transform_kernelI37fast_hadamard_transform_kernel_traitsILi16ELi7E14__hip_bfloat16EEv18HadamardParamsBase
    .private_segment_fixed_size: 0
    .sgpr_count:     16
    .sgpr_spill_count: 0
    .symbol:         _Z30fast_hadamard_transform_kernelI37fast_hadamard_transform_kernel_traitsILi16ELi7E14__hip_bfloat16EEv18HadamardParamsBase.kd
    .uniform_work_group_size: 1
    .uses_dynamic_stack: false
    .vgpr_count:     18
    .vgpr_spill_count: 0
    .wavefront_size: 64
  - .args:
      - .offset:         0
        .size:           56
        .value_kind:     by_value
    .group_segment_fixed_size: 0
    .kernarg_segment_align: 8
    .kernarg_segment_size: 56
    .language:       OpenCL C
    .language_version:
      - 2
      - 0
    .max_flat_workgroup_size: 32
    .name:           _Z30fast_hadamard_transform_kernelI37fast_hadamard_transform_kernel_traitsILi32ELi8E14__hip_bfloat16EEv18HadamardParamsBase
    .private_segment_fixed_size: 0
    .sgpr_count:     16
    .sgpr_spill_count: 0
    .symbol:         _Z30fast_hadamard_transform_kernelI37fast_hadamard_transform_kernel_traitsILi32ELi8E14__hip_bfloat16EEv18HadamardParamsBase.kd
    .uniform_work_group_size: 1
    .uses_dynamic_stack: false
    .vgpr_count:     18
    .vgpr_spill_count: 0
    .wavefront_size: 64
  - .args:
      - .offset:         0
        .size:           56
        .value_kind:     by_value
      - .offset:         56
        .size:           4
        .value_kind:     hidden_block_count_x
      - .offset:         60
        .size:           4
        .value_kind:     hidden_block_count_y
      - .offset:         64
        .size:           4
        .value_kind:     hidden_block_count_z
      - .offset:         68
        .size:           2
        .value_kind:     hidden_group_size_x
      - .offset:         70
        .size:           2
        .value_kind:     hidden_group_size_y
      - .offset:         72
        .size:           2
        .value_kind:     hidden_group_size_z
      - .offset:         74
        .size:           2
        .value_kind:     hidden_remainder_x
      - .offset:         76
        .size:           2
        .value_kind:     hidden_remainder_y
      - .offset:         78
        .size:           2
        .value_kind:     hidden_remainder_z
      - .offset:         96
        .size:           8
        .value_kind:     hidden_global_offset_x
      - .offset:         104
        .size:           8
        .value_kind:     hidden_global_offset_y
      - .offset:         112
        .size:           8
        .value_kind:     hidden_global_offset_z
      - .offset:         120
        .size:           2
        .value_kind:     hidden_grid_dims
    .group_segment_fixed_size: 0
    .kernarg_segment_align: 8
    .kernarg_segment_size: 312
    .language:       OpenCL C
    .language_version:
      - 2
      - 0
    .max_flat_workgroup_size: 32
    .name:           _Z30fast_hadamard_transform_kernelI37fast_hadamard_transform_kernel_traitsILi32ELi9E14__hip_bfloat16EEv18HadamardParamsBase
    .private_segment_fixed_size: 0
    .sgpr_count:     24
    .sgpr_spill_count: 0
    .symbol:         _Z30fast_hadamard_transform_kernelI37fast_hadamard_transform_kernel_traitsILi32ELi9E14__hip_bfloat16EEv18HadamardParamsBase.kd
    .uniform_work_group_size: 1
    .uses_dynamic_stack: false
    .vgpr_count:     27
    .vgpr_spill_count: 0
    .wavefront_size: 64
  - .args:
      - .offset:         0
        .size:           56
        .value_kind:     by_value
    .group_segment_fixed_size: 0
    .kernarg_segment_align: 8
    .kernarg_segment_size: 56
    .language:       OpenCL C
    .language_version:
      - 2
      - 0
    .max_flat_workgroup_size: 128
    .name:           _Z30fast_hadamard_transform_kernelI37fast_hadamard_transform_kernel_traitsILi128ELi10E14__hip_bfloat16EEv18HadamardParamsBase
    .private_segment_fixed_size: 0
    .sgpr_count:     16
    .sgpr_spill_count: 0
    .symbol:         _Z30fast_hadamard_transform_kernelI37fast_hadamard_transform_kernel_traitsILi128ELi10E14__hip_bfloat16EEv18HadamardParamsBase.kd
    .uniform_work_group_size: 1
    .uses_dynamic_stack: false
    .vgpr_count:     18
    .vgpr_spill_count: 0
    .wavefront_size: 64
  - .args:
      - .offset:         0
        .size:           56
        .value_kind:     by_value
    .group_segment_fixed_size: 0
    .kernarg_segment_align: 8
    .kernarg_segment_size: 56
    .language:       OpenCL C
    .language_version:
      - 2
      - 0
    .max_flat_workgroup_size: 256
    .name:           _Z30fast_hadamard_transform_kernelI37fast_hadamard_transform_kernel_traitsILi256ELi11E14__hip_bfloat16EEv18HadamardParamsBase
    .private_segment_fixed_size: 0
    .sgpr_count:     16
    .sgpr_spill_count: 0
    .symbol:         _Z30fast_hadamard_transform_kernelI37fast_hadamard_transform_kernel_traitsILi256ELi11E14__hip_bfloat16EEv18HadamardParamsBase.kd
    .uniform_work_group_size: 1
    .uses_dynamic_stack: false
    .vgpr_count:     18
    .vgpr_spill_count: 0
    .wavefront_size: 64
  - .args:
      - .offset:         0
        .size:           56
        .value_kind:     by_value
      - .offset:         56
        .size:           4
        .value_kind:     hidden_block_count_x
      - .offset:         60
        .size:           4
        .value_kind:     hidden_block_count_y
      - .offset:         64
        .size:           4
        .value_kind:     hidden_block_count_z
      - .offset:         68
        .size:           2
        .value_kind:     hidden_group_size_x
      - .offset:         70
        .size:           2
        .value_kind:     hidden_group_size_y
      - .offset:         72
        .size:           2
        .value_kind:     hidden_group_size_z
      - .offset:         74
        .size:           2
        .value_kind:     hidden_remainder_x
      - .offset:         76
        .size:           2
        .value_kind:     hidden_remainder_y
      - .offset:         78
        .size:           2
        .value_kind:     hidden_remainder_z
      - .offset:         96
        .size:           8
        .value_kind:     hidden_global_offset_x
      - .offset:         104
        .size:           8
        .value_kind:     hidden_global_offset_y
      - .offset:         112
        .size:           8
        .value_kind:     hidden_global_offset_z
      - .offset:         120
        .size:           2
        .value_kind:     hidden_grid_dims
      - .offset:         176
        .size:           4
        .value_kind:     hidden_dynamic_lds_size
    .group_segment_fixed_size: 0
    .kernarg_segment_align: 8
    .kernarg_segment_size: 312
    .language:       OpenCL C
    .language_version:
      - 2
      - 0
    .max_flat_workgroup_size: 256
    .name:           _Z30fast_hadamard_transform_kernelI37fast_hadamard_transform_kernel_traitsILi256ELi12E14__hip_bfloat16EEv18HadamardParamsBase
    .private_segment_fixed_size: 0
    .sgpr_count:     25
    .sgpr_spill_count: 0
    .symbol:         _Z30fast_hadamard_transform_kernelI37fast_hadamard_transform_kernel_traitsILi256ELi12E14__hip_bfloat16EEv18HadamardParamsBase.kd
    .uniform_work_group_size: 1
    .uses_dynamic_stack: false
    .vgpr_count:     33
    .vgpr_spill_count: 0
    .wavefront_size: 64
  - .args:
      - .offset:         0
        .size:           56
        .value_kind:     by_value
      - .offset:         56
        .size:           4
        .value_kind:     hidden_block_count_x
      - .offset:         60
        .size:           4
        .value_kind:     hidden_block_count_y
      - .offset:         64
        .size:           4
        .value_kind:     hidden_block_count_z
      - .offset:         68
        .size:           2
        .value_kind:     hidden_group_size_x
      - .offset:         70
        .size:           2
        .value_kind:     hidden_group_size_y
      - .offset:         72
        .size:           2
        .value_kind:     hidden_group_size_z
      - .offset:         74
        .size:           2
        .value_kind:     hidden_remainder_x
      - .offset:         76
        .size:           2
        .value_kind:     hidden_remainder_y
      - .offset:         78
        .size:           2
        .value_kind:     hidden_remainder_z
      - .offset:         96
        .size:           8
        .value_kind:     hidden_global_offset_x
      - .offset:         104
        .size:           8
        .value_kind:     hidden_global_offset_y
      - .offset:         112
        .size:           8
        .value_kind:     hidden_global_offset_z
      - .offset:         120
        .size:           2
        .value_kind:     hidden_grid_dims
      - .offset:         176
        .size:           4
        .value_kind:     hidden_dynamic_lds_size
    .group_segment_fixed_size: 0
    .kernarg_segment_align: 8
    .kernarg_segment_size: 312
    .language:       OpenCL C
    .language_version:
      - 2
      - 0
    .max_flat_workgroup_size: 256
    .name:           _Z30fast_hadamard_transform_kernelI37fast_hadamard_transform_kernel_traitsILi256ELi13E14__hip_bfloat16EEv18HadamardParamsBase
    .private_segment_fixed_size: 0
    .sgpr_count:     28
    .sgpr_spill_count: 0
    .symbol:         _Z30fast_hadamard_transform_kernelI37fast_hadamard_transform_kernel_traitsILi256ELi13E14__hip_bfloat16EEv18HadamardParamsBase.kd
    .uniform_work_group_size: 1
    .uses_dynamic_stack: false
    .vgpr_count:     62
    .vgpr_spill_count: 0
    .wavefront_size: 64
  - .args:
      - .offset:         0
        .size:           56
        .value_kind:     by_value
      - .offset:         56
        .size:           4
        .value_kind:     hidden_block_count_x
      - .offset:         60
        .size:           4
        .value_kind:     hidden_block_count_y
      - .offset:         64
        .size:           4
        .value_kind:     hidden_block_count_z
      - .offset:         68
        .size:           2
        .value_kind:     hidden_group_size_x
      - .offset:         70
        .size:           2
        .value_kind:     hidden_group_size_y
      - .offset:         72
        .size:           2
        .value_kind:     hidden_group_size_z
      - .offset:         74
        .size:           2
        .value_kind:     hidden_remainder_x
      - .offset:         76
        .size:           2
        .value_kind:     hidden_remainder_y
      - .offset:         78
        .size:           2
        .value_kind:     hidden_remainder_z
      - .offset:         96
        .size:           8
        .value_kind:     hidden_global_offset_x
      - .offset:         104
        .size:           8
        .value_kind:     hidden_global_offset_y
      - .offset:         112
        .size:           8
        .value_kind:     hidden_global_offset_z
      - .offset:         120
        .size:           2
        .value_kind:     hidden_grid_dims
      - .offset:         176
        .size:           4
        .value_kind:     hidden_dynamic_lds_size
    .group_segment_fixed_size: 0
    .kernarg_segment_align: 8
    .kernarg_segment_size: 312
    .language:       OpenCL C
    .language_version:
      - 2
      - 0
    .max_flat_workgroup_size: 256
    .name:           _Z30fast_hadamard_transform_kernelI37fast_hadamard_transform_kernel_traitsILi256ELi14E14__hip_bfloat16EEv18HadamardParamsBase
    .private_segment_fixed_size: 0
    .sgpr_count:     33
    .sgpr_spill_count: 0
    .symbol:         _Z30fast_hadamard_transform_kernelI37fast_hadamard_transform_kernel_traitsILi256ELi14E14__hip_bfloat16EEv18HadamardParamsBase.kd
    .uniform_work_group_size: 1
    .uses_dynamic_stack: false
    .vgpr_count:     139
    .vgpr_spill_count: 0
    .wavefront_size: 64
  - .args:
      - .offset:         0
        .size:           56
        .value_kind:     by_value
      - .offset:         56
        .size:           4
        .value_kind:     hidden_block_count_x
      - .offset:         60
        .size:           4
        .value_kind:     hidden_block_count_y
      - .offset:         64
        .size:           4
        .value_kind:     hidden_block_count_z
      - .offset:         68
        .size:           2
        .value_kind:     hidden_group_size_x
      - .offset:         70
        .size:           2
        .value_kind:     hidden_group_size_y
      - .offset:         72
        .size:           2
        .value_kind:     hidden_group_size_z
      - .offset:         74
        .size:           2
        .value_kind:     hidden_remainder_x
      - .offset:         76
        .size:           2
        .value_kind:     hidden_remainder_y
      - .offset:         78
        .size:           2
        .value_kind:     hidden_remainder_z
      - .offset:         96
        .size:           8
        .value_kind:     hidden_global_offset_x
      - .offset:         104
        .size:           8
        .value_kind:     hidden_global_offset_y
      - .offset:         112
        .size:           8
        .value_kind:     hidden_global_offset_z
      - .offset:         120
        .size:           2
        .value_kind:     hidden_grid_dims
      - .offset:         176
        .size:           4
        .value_kind:     hidden_dynamic_lds_size
    .group_segment_fixed_size: 0
    .kernarg_segment_align: 8
    .kernarg_segment_size: 312
    .language:       OpenCL C
    .language_version:
      - 2
      - 0
    .max_flat_workgroup_size: 256
    .name:           _Z30fast_hadamard_transform_kernelI37fast_hadamard_transform_kernel_traitsILi256ELi15E14__hip_bfloat16EEv18HadamardParamsBase
    .private_segment_fixed_size: 172
    .sgpr_count:     56
    .sgpr_spill_count: 0
    .symbol:         _Z30fast_hadamard_transform_kernelI37fast_hadamard_transform_kernel_traitsILi256ELi15E14__hip_bfloat16EEv18HadamardParamsBase.kd
    .uniform_work_group_size: 1
    .uses_dynamic_stack: false
    .vgpr_count:     256
    .vgpr_spill_count: 44
    .wavefront_size: 64
amdhsa.target:   amdgcn-amd-amdhsa--gfx906
amdhsa.version:
  - 1
  - 2
...

	.end_amdgpu_metadata
